;; amdgpu-corpus repo=ROCm/rocFFT kind=compiled arch=gfx906 opt=O3
	.text
	.amdgcn_target "amdgcn-amd-amdhsa--gfx906"
	.amdhsa_code_object_version 6
	.protected	bluestein_single_fwd_len833_dim1_dp_op_CI_CI ; -- Begin function bluestein_single_fwd_len833_dim1_dp_op_CI_CI
	.globl	bluestein_single_fwd_len833_dim1_dp_op_CI_CI
	.p2align	8
	.type	bluestein_single_fwd_len833_dim1_dp_op_CI_CI,@function
bluestein_single_fwd_len833_dim1_dp_op_CI_CI: ; @bluestein_single_fwd_len833_dim1_dp_op_CI_CI
; %bb.0:
	s_mov_b64 s[62:63], s[2:3]
	s_mov_b64 s[60:61], s[0:1]
	s_load_dwordx4 s[0:3], s[4:5], 0x28
	v_mul_u32_u24_e32 v1, 0x227, v0
	v_add_u32_sdwa v152, s6, v1 dst_sel:DWORD dst_unused:UNUSED_PAD src0_sel:DWORD src1_sel:WORD_1
	v_mov_b32_e32 v153, 0
	s_add_u32 s60, s60, s7
	s_waitcnt lgkmcnt(0)
	v_cmp_gt_u64_e32 vcc, s[0:1], v[152:153]
	s_addc_u32 s61, s61, 0
	s_and_saveexec_b64 s[0:1], vcc
	s_cbranch_execz .LBB0_15
; %bb.1:
	s_load_dwordx2 s[12:13], s[4:5], 0x0
	s_load_dwordx2 s[14:15], s[4:5], 0x38
	s_movk_i32 s0, 0x77
	v_mul_lo_u16_sdwa v1, v1, s0 dst_sel:DWORD dst_unused:UNUSED_PAD src0_sel:WORD_1 src1_sel:DWORD
	v_sub_u16_e32 v0, v0, v1
	v_cmp_gt_u16_e64 s[0:1], 49, v0
	v_lshlrev_b32_e32 v255, 4, v0
	buffer_store_dword v0, off, s[60:63], 0 ; 4-byte Folded Spill
	s_and_saveexec_b64 s[6:7], s[0:1]
	s_cbranch_execz .LBB0_3
; %bb.2:
	buffer_load_dword v6, off, s[60:63], 0  ; 4-byte Folded Reload
	s_load_dwordx2 s[8:9], s[4:5], 0x18
	s_waitcnt lgkmcnt(0)
	v_mov_b32_e32 v44, s13
	s_load_dwordx4 s[8:11], s[8:9], 0x0
	s_waitcnt lgkmcnt(0)
	v_mad_u64_u32 v[0:1], s[16:17], s10, v152, 0
	s_waitcnt vmcnt(0)
	v_mad_u64_u32 v[2:3], s[16:17], s8, v6, 0
	v_mad_u64_u32 v[4:5], s[10:11], s11, v152, v[1:2]
	;; [unrolled: 1-line block ×3, first 2 shown]
	v_mov_b32_e32 v1, v4
	v_lshlrev_b64 v[0:1], 4, v[0:1]
	v_mov_b32_e32 v3, v5
	v_mov_b32_e32 v6, s3
	v_lshlrev_b64 v[2:3], 4, v[2:3]
	v_add_co_u32_e32 v0, vcc, s2, v0
	v_addc_co_u32_e32 v1, vcc, v6, v1, vcc
	v_add_co_u32_e32 v8, vcc, v0, v2
	s_mul_i32 s2, s9, 0x310
	s_mul_hi_u32 s3, s8, 0x310
	v_addc_co_u32_e32 v9, vcc, v1, v3, vcc
	s_add_i32 s2, s3, s2
	s_mul_i32 s3, s8, 0x310
	v_mov_b32_e32 v0, s2
	v_add_co_u32_e32 v10, vcc, s3, v8
	v_addc_co_u32_e32 v11, vcc, v9, v0, vcc
	global_load_dwordx4 v[0:3], v[8:9], off
	global_load_dwordx4 v[4:7], v[10:11], off
	v_mov_b32_e32 v8, s2
	v_add_co_u32_e32 v24, vcc, s3, v10
	v_addc_co_u32_e32 v25, vcc, v11, v8, vcc
	v_mov_b32_e32 v16, s2
	v_add_co_u32_e32 v26, vcc, s3, v24
	v_addc_co_u32_e32 v27, vcc, v25, v16, vcc
	global_load_dwordx4 v[8:11], v255, s[12:13] offset:784
	global_load_dwordx4 v[12:15], v255, s[12:13] offset:1568
	global_load_dwordx4 v[16:19], v[24:25], off
	global_load_dwordx4 v[20:23], v[26:27], off
	v_mov_b32_e32 v24, s2
	v_add_co_u32_e32 v36, vcc, s3, v26
	v_addc_co_u32_e32 v37, vcc, v27, v24, vcc
	v_mov_b32_e32 v38, s2
	v_add_co_u32_e32 v52, vcc, s3, v36
	v_addc_co_u32_e32 v53, vcc, v37, v38, vcc
	v_add_co_u32_e32 v98, vcc, s12, v255
	s_movk_i32 s8, 0x1000
	v_addc_co_u32_e32 v99, vcc, 0, v44, vcc
	v_add_co_u32_e32 v92, vcc, s8, v98
	s_movk_i32 s9, 0x3000
	v_addc_co_u32_e32 v93, vcc, 0, v99, vcc
	global_load_dwordx4 v[24:27], v[36:37], off
	global_load_dwordx4 v[28:31], v255, s[12:13] offset:2352
	global_load_dwordx4 v[32:35], v255, s[12:13] offset:3136
	v_add_co_u32_e32 v54, vcc, s9, v98
	v_addc_co_u32_e32 v55, vcc, 0, v99, vcc
	global_load_dwordx4 v[36:39], v255, s[12:13] offset:3920
	global_load_dwordx4 v[40:43], v[52:53], off
	global_load_dwordx4 v[44:47], v255, s[12:13]
	global_load_dwordx4 v[48:51], v[54:55], off offset:256
	v_mov_b32_e32 v54, s2
	v_add_co_u32_e32 v56, vcc, s3, v52
	v_addc_co_u32_e32 v57, vcc, v53, v54, vcc
	v_mov_b32_e32 v58, s2
	v_add_co_u32_e32 v68, vcc, s3, v56
	v_addc_co_u32_e32 v69, vcc, v57, v58, vcc
	;; [unrolled: 3-line block ×3, first 2 shown]
	global_load_dwordx4 v[52:55], v[56:57], off
	v_mov_b32_e32 v74, s2
	v_add_co_u32_e32 v84, vcc, s3, v72
	global_load_dwordx4 v[56:59], v[68:69], off
	global_load_dwordx4 v[60:63], v[92:93], off offset:608
	global_load_dwordx4 v[64:67], v[92:93], off offset:1392
	v_addc_co_u32_e32 v85, vcc, v73, v74, vcc
	global_load_dwordx4 v[68:71], v[72:73], off
	v_mov_b32_e32 v86, s2
	v_add_co_u32_e32 v94, vcc, s3, v84
	global_load_dwordx4 v[72:75], v[84:85], off
	global_load_dwordx4 v[76:79], v[92:93], off offset:2176
	global_load_dwordx4 v[80:83], v[92:93], off offset:2960
	v_addc_co_u32_e32 v95, vcc, v85, v86, vcc
	global_load_dwordx4 v[84:87], v[94:95], off
	global_load_dwordx4 v[88:91], v[92:93], off offset:3744
	v_mov_b32_e32 v92, s2
	v_add_co_u32_e32 v96, vcc, s3, v94
	v_addc_co_u32_e32 v97, vcc, v95, v92, vcc
	s_movk_i32 s8, 0x2000
	v_add_co_u32_e32 v128, vcc, s8, v98
	v_addc_co_u32_e32 v129, vcc, 0, v99, vcc
	v_mov_b32_e32 v98, s2
	v_add_co_u32_e32 v108, vcc, s3, v96
	v_addc_co_u32_e32 v109, vcc, v97, v98, vcc
	v_mov_b32_e32 v110, s2
	v_add_co_u32_e32 v112, vcc, s3, v108
	v_addc_co_u32_e32 v113, vcc, v109, v110, vcc
	v_mov_b32_e32 v114, s2
	v_add_co_u32_e32 v124, vcc, s3, v112
	global_load_dwordx4 v[92:95], v[96:97], off
	v_addc_co_u32_e32 v125, vcc, v113, v114, vcc
	global_load_dwordx4 v[96:99], v[108:109], off
	global_load_dwordx4 v[100:103], v[128:129], off offset:432
	global_load_dwordx4 v[104:107], v[128:129], off offset:1216
	v_mov_b32_e32 v126, s2
	v_add_co_u32_e32 v132, vcc, s3, v124
	global_load_dwordx4 v[108:111], v[112:113], off
	v_addc_co_u32_e32 v133, vcc, v125, v126, vcc
	global_load_dwordx4 v[112:115], v[124:125], off
	global_load_dwordx4 v[116:119], v[128:129], off offset:2000
	global_load_dwordx4 v[120:123], v[128:129], off offset:2784
	s_nop 0
	global_load_dwordx4 v[124:127], v[132:133], off
	s_nop 0
	global_load_dwordx4 v[128:131], v[128:129], off offset:3568
	v_mov_b32_e32 v134, s2
	v_add_co_u32_e32 v132, vcc, s3, v132
	v_addc_co_u32_e32 v133, vcc, v133, v134, vcc
	global_load_dwordx4 v[132:135], v[132:133], off
	s_waitcnt vmcnt(31)
	v_mul_f64 v[138:139], v[6:7], v[10:11]
	v_mul_f64 v[10:11], v[4:5], v[10:11]
	s_waitcnt vmcnt(29)
	v_mul_f64 v[140:141], v[18:19], v[14:15]
	v_mul_f64 v[14:15], v[16:17], v[14:15]
	;; [unrolled: 3-line block ×3, first 2 shown]
	v_mul_f64 v[142:143], v[22:23], v[30:31]
	s_waitcnt vmcnt(22)
	v_mul_f64 v[136:137], v[2:3], v[46:47]
	v_mul_f64 v[46:47], v[0:1], v[46:47]
	;; [unrolled: 1-line block ×5, first 2 shown]
	v_fma_f64 v[4:5], v[4:5], v[8:9], v[138:139]
	v_fma_f64 v[6:7], v[6:7], v[8:9], -v[10:11]
	v_fma_f64 v[8:9], v[16:17], v[12:13], v[140:141]
	v_fma_f64 v[10:11], v[18:19], v[12:13], -v[14:15]
	;; [unrolled: 2-line block ×6, first 2 shown]
	s_waitcnt vmcnt(18)
	v_mul_f64 v[24:25], v[54:55], v[62:63]
	v_mul_f64 v[26:27], v[52:53], v[62:63]
	s_waitcnt vmcnt(17)
	v_mul_f64 v[28:29], v[58:59], v[66:67]
	v_mul_f64 v[30:31], v[56:57], v[66:67]
	ds_write_b128 v255, v[0:3]
	s_waitcnt vmcnt(14)
	v_mul_f64 v[32:33], v[70:71], v[78:79]
	v_mul_f64 v[34:35], v[68:69], v[78:79]
	v_fma_f64 v[24:25], v[52:53], v[60:61], v[24:25]
	v_fma_f64 v[26:27], v[54:55], v[60:61], -v[26:27]
	v_fma_f64 v[0:1], v[56:57], v[64:65], v[28:29]
	v_fma_f64 v[2:3], v[58:59], v[64:65], -v[30:31]
	;; [unrolled: 2-line block ×3, first 2 shown]
	ds_write_b128 v255, v[4:7] offset:784
	ds_write_b128 v255, v[8:11] offset:1568
	;; [unrolled: 1-line block ×8, first 2 shown]
	s_waitcnt vmcnt(13)
	v_mul_f64 v[0:1], v[74:75], v[82:83]
	v_mul_f64 v[2:3], v[72:73], v[82:83]
	s_waitcnt vmcnt(11)
	v_mul_f64 v[4:5], v[86:87], v[90:91]
	v_mul_f64 v[6:7], v[84:85], v[90:91]
	v_fma_f64 v[0:1], v[72:73], v[80:81], v[0:1]
	v_fma_f64 v[2:3], v[74:75], v[80:81], -v[2:3]
	v_fma_f64 v[4:5], v[84:85], v[88:89], v[4:5]
	v_fma_f64 v[6:7], v[86:87], v[88:89], -v[6:7]
	s_waitcnt vmcnt(8)
	v_mul_f64 v[8:9], v[94:95], v[102:103]
	v_mul_f64 v[10:11], v[92:93], v[102:103]
	s_waitcnt vmcnt(7)
	v_mul_f64 v[12:13], v[98:99], v[106:107]
	v_mul_f64 v[14:15], v[96:97], v[106:107]
	;; [unrolled: 3-line block ×5, first 2 shown]
	v_fma_f64 v[8:9], v[92:93], v[100:101], v[8:9]
	v_fma_f64 v[10:11], v[94:95], v[100:101], -v[10:11]
	s_waitcnt vmcnt(0)
	v_mul_f64 v[28:29], v[134:135], v[50:51]
	v_mul_f64 v[30:31], v[132:133], v[50:51]
	v_fma_f64 v[12:13], v[96:97], v[104:105], v[12:13]
	v_fma_f64 v[14:15], v[98:99], v[104:105], -v[14:15]
	v_fma_f64 v[16:17], v[108:109], v[116:117], v[16:17]
	v_fma_f64 v[18:19], v[110:111], v[116:117], -v[18:19]
	;; [unrolled: 2-line block ×5, first 2 shown]
	ds_write_b128 v255, v[0:3] offset:7056
	ds_write_b128 v255, v[4:7] offset:7840
	;; [unrolled: 1-line block ×8, first 2 shown]
.LBB0_3:
	s_or_b64 exec, exec, s[6:7]
	s_load_dwordx2 s[6:7], s[4:5], 0x20
	s_load_dwordx2 s[2:3], s[4:5], 0x8
	s_waitcnt vmcnt(0) lgkmcnt(0)
	s_barrier
	s_waitcnt lgkmcnt(0)
                                        ; implicit-def: $vgpr36_vgpr37
                                        ; implicit-def: $vgpr88_vgpr89
                                        ; implicit-def: $vgpr92_vgpr93
                                        ; implicit-def: $vgpr96_vgpr97
                                        ; implicit-def: $vgpr100_vgpr101
                                        ; implicit-def: $vgpr104_vgpr105
                                        ; implicit-def: $vgpr52_vgpr53
                                        ; implicit-def: $vgpr44_vgpr45
                                        ; implicit-def: $vgpr48_vgpr49
                                        ; implicit-def: $vgpr56_vgpr57
                                        ; implicit-def: $vgpr60_vgpr61
                                        ; implicit-def: $vgpr64_vgpr65
                                        ; implicit-def: $vgpr68_vgpr69
                                        ; implicit-def: $vgpr72_vgpr73
                                        ; implicit-def: $vgpr76_vgpr77
                                        ; implicit-def: $vgpr80_vgpr81
                                        ; implicit-def: $vgpr84_vgpr85
	s_and_saveexec_b64 s[4:5], s[0:1]
	s_cbranch_execz .LBB0_5
; %bb.4:
	ds_read_b128 v[36:39], v255
	ds_read_b128 v[88:91], v255 offset:784
	ds_read_b128 v[92:95], v255 offset:1568
	;; [unrolled: 1-line block ×16, first 2 shown]
.LBB0_5:
	s_or_b64 exec, exec, s[4:5]
	s_waitcnt lgkmcnt(0)
	v_add_f64 v[2:3], v[90:91], -v[86:87]
	s_mov_b32 s40, 0x5d8e7cdc
	s_mov_b32 s41, 0xbfd71e95
	v_add_f64 v[0:1], v[88:89], -v[84:85]
	v_add_f64 v[110:111], v[94:95], -v[82:83]
	s_mov_b32 s48, 0x2a9d6da3
	s_mov_b32 s38, 0x7c9e640b
	;; [unrolled: 1-line block ×3, first 2 shown]
	v_mul_f64 v[4:5], v[2:3], s[40:41]
	s_mov_b32 s26, 0x923c349f
	s_mov_b32 s28, 0x6c9a05f6
	s_mov_b32 s49, 0xbfe58eea
	s_mov_b32 s39, 0xbfeca52d
	s_mov_b32 s43, 0xbfefdd0d
	s_mov_b32 s27, 0xbfeec746
	s_mov_b32 s29, 0xbfe9895b
	v_mul_f64 v[6:7], v[0:1], s[40:41]
	buffer_store_dword v4, off, s[60:63], 0 offset:4 ; 4-byte Folded Spill
	s_nop 0
	buffer_store_dword v5, off, s[60:63], 0 offset:8 ; 4-byte Folded Spill
	v_mul_f64 v[8:9], v[2:3], s[48:49]
	v_mul_f64 v[10:11], v[0:1], s[48:49]
	v_mul_f64 v[12:13], v[2:3], s[38:39]
	v_mul_f64 v[14:15], v[0:1], s[38:39]
	v_mul_f64 v[16:17], v[2:3], s[42:43]
	v_mul_f64 v[18:19], v[0:1], s[42:43]
	v_mul_f64 v[20:21], v[2:3], s[26:27]
	v_mul_f64 v[22:23], v[0:1], s[26:27]
	v_mul_f64 v[24:25], v[2:3], s[28:29]
	v_mul_f64 v[26:27], v[0:1], s[28:29]
	v_add_f64 v[108:109], v[92:93], -v[80:81]
	v_mul_f64 v[112:113], v[110:111], s[48:49]
	buffer_store_dword v6, off, s[60:63], 0 offset:20 ; 4-byte Folded Spill
	s_nop 0
	buffer_store_dword v7, off, s[60:63], 0 offset:24 ; 4-byte Folded Spill
	buffer_store_dword v8, off, s[60:63], 0 offset:36 ; 4-byte Folded Spill
	s_nop 0
	buffer_store_dword v9, off, s[60:63], 0 offset:40 ; 4-byte Folded Spill
	;; [unrolled: 3-line block ×11, first 2 shown]
	v_mul_f64 v[118:119], v[108:109], s[48:49]
	buffer_store_dword v112, off, s[60:63], 0 offset:132 ; 4-byte Folded Spill
	s_nop 0
	buffer_store_dword v113, off, s[60:63], 0 offset:136 ; 4-byte Folded Spill
	buffer_store_dword v118, off, s[60:63], 0 offset:140 ; 4-byte Folded Spill
	s_nop 0
	buffer_store_dword v119, off, s[60:63], 0 offset:144 ; 4-byte Folded Spill
	v_add_f64 v[114:115], v[88:89], v[84:85]
	s_mov_b32 s4, 0x370991
	s_mov_b32 s5, 0x3fedd6d0
	v_add_f64 v[116:117], v[90:91], v[86:87]
	v_add_f64 v[124:125], v[92:93], v[80:81]
	s_mov_b32 s22, 0x75d4884
	s_mov_b32 s23, 0x3fe7a5f6
	v_add_f64 v[126:127], v[94:95], v[82:83]
	s_mov_b32 s10, 0x3259b75e
	s_mov_b32 s11, 0x3fb79ee6
	s_mov_b32 s8, 0x2b2883cd
	s_mov_b32 s9, 0x3fdc86fa
	s_mov_b32 s24, 0x6ed5f1bb
	s_mov_b32 s25, 0xbfe348c8
	s_mov_b32 s36, 0xacd6c6b4
	s_mov_b32 s37, 0xbfc7851a
	s_mov_b32 s20, 0x7faef3
	s_mov_b32 s21, 0xbfef7484
	s_mov_b32 s34, 0x4363dd80
	s_mov_b32 s35, 0xbfe0d888
	s_mov_b32 s53, 0x3fe0d888
	s_mov_b32 s52, s34
	s_mov_b32 s18, 0xc61f0d01
	s_mov_b32 s19, 0xbfd183b1
	s_mov_b32 s16, 0x910ea3b9
	s_mov_b32 s17, 0xbfeb34fa
	s_mov_b32 s51, 0x3feec746
	s_mov_b32 s50, s26
	v_mul_f64 v[28:29], v[2:3], s[34:35]
	s_mov_b32 s31, 0x3feca52d
	s_mov_b32 s30, s38
	v_mul_f64 v[32:33], v[0:1], s[34:35]
	v_mul_f64 v[2:3], v[2:3], s[36:37]
	s_mov_b32 s47, 0x3fd71e95
	s_mov_b32 s46, s40
	v_mul_f64 v[0:1], v[0:1], s[36:37]
	v_fma_f64 v[30:31], v[114:115], s[16:17], -v[28:29]
	v_fma_f64 v[28:29], v[114:115], s[16:17], v[28:29]
	v_add_f64 v[153:154], v[96:97], v[76:77]
	v_fma_f64 v[34:35], v[116:117], s[16:17], v[32:33]
	v_fma_f64 v[32:33], v[116:117], s[16:17], -v[32:33]
	v_fma_f64 v[40:41], v[114:115], s[20:21], -v[2:3]
	v_fma_f64 v[2:3], v[114:115], s[20:21], v[2:3]
	v_fma_f64 v[42:43], v[116:117], s[20:21], v[0:1]
	v_add_f64 v[30:31], v[36:37], v[30:31]
	v_add_f64 v[28:29], v[36:37], v[28:29]
	v_fma_f64 v[4:5], v[114:115], s[4:5], v[4:5]
	v_fma_f64 v[0:1], v[116:117], s[20:21], -v[0:1]
	v_add_f64 v[32:33], v[38:39], v[32:33]
	v_add_f64 v[40:41], v[36:37], v[40:41]
	;; [unrolled: 1-line block ×5, first 2 shown]
	s_mov_b32 s45, 0x3fc7851a
	v_add_f64 v[4:5], v[36:37], v[4:5]
	v_add_f64 v[0:1], v[38:39], v[0:1]
	s_mov_b32 s44, s36
	v_add_f64 v[34:35], v[38:39], v[34:35]
	v_add_f64 v[179:180], v[100:101], v[72:73]
	v_fma_f64 v[6:7], v[116:117], s[4:5], -v[6:7]
	v_fma_f64 v[8:9], v[114:115], s[22:23], v[8:9]
	v_fma_f64 v[10:11], v[116:117], s[22:23], -v[10:11]
	v_fma_f64 v[12:13], v[114:115], s[8:9], v[12:13]
	;; [unrolled: 2-line block ×4, first 2 shown]
	v_add_f64 v[6:7], v[38:39], v[6:7]
	v_add_f64 v[8:9], v[36:37], v[8:9]
	;; [unrolled: 1-line block ×4, first 2 shown]
	v_fma_f64 v[112:113], v[124:125], s[22:23], v[112:113]
	v_add_f64 v[14:15], v[38:39], v[14:15]
	v_add_f64 v[16:17], v[36:37], v[16:17]
	;; [unrolled: 1-line block ×4, first 2 shown]
	v_fma_f64 v[22:23], v[116:117], s[18:19], -v[22:23]
	v_fma_f64 v[24:25], v[114:115], s[24:25], v[24:25]
	v_fma_f64 v[26:27], v[116:117], s[24:25], -v[26:27]
	v_add_f64 v[4:5], v[112:113], v[4:5]
	v_fma_f64 v[112:113], v[126:127], s[22:23], -v[118:119]
	v_mul_f64 v[118:119], v[108:109], s[42:43]
	v_add_f64 v[181:182], v[102:103], v[74:75]
	s_mov_b32 s55, 0x3fe9895b
	v_add_f64 v[22:23], v[38:39], v[22:23]
	v_add_f64 v[24:25], v[36:37], v[24:25]
	;; [unrolled: 1-line block ×3, first 2 shown]
	s_mov_b32 s54, s28
	v_add_f64 v[6:7], v[112:113], v[6:7]
	v_mul_f64 v[112:113], v[110:111], s[42:43]
	buffer_store_dword v112, off, s[60:63], 0 offset:148 ; 4-byte Folded Spill
	s_nop 0
	buffer_store_dword v113, off, s[60:63], 0 offset:152 ; 4-byte Folded Spill
	buffer_store_dword v118, off, s[60:63], 0 offset:172 ; 4-byte Folded Spill
	s_nop 0
	buffer_store_dword v119, off, s[60:63], 0 offset:176 ; 4-byte Folded Spill
	v_add_f64 v[207:208], v[104:105], v[68:69]
	v_add_f64 v[209:210], v[106:107], v[70:71]
	;; [unrolled: 1-line block ×4, first 2 shown]
	v_add_f64 v[157:158], v[46:47], -v[62:63]
	v_add_f64 v[150:151], v[44:45], -v[60:61]
	;; [unrolled: 1-line block ×4, first 2 shown]
	v_mul_f64 v[167:168], v[157:158], s[54:55]
	v_mul_f64 v[140:141], v[150:151], s[30:31]
	;; [unrolled: 1-line block ×15, first 2 shown]
	v_fma_f64 v[112:113], v[124:125], s[10:11], v[112:113]
	v_add_f64 v[8:9], v[112:113], v[8:9]
	v_fma_f64 v[112:113], v[126:127], s[10:11], -v[118:119]
	v_mul_f64 v[118:119], v[108:109], s[28:29]
	v_add_f64 v[10:11], v[112:113], v[10:11]
	v_mul_f64 v[112:113], v[110:111], s[28:29]
	buffer_store_dword v112, off, s[60:63], 0 offset:180 ; 4-byte Folded Spill
	s_nop 0
	buffer_store_dword v113, off, s[60:63], 0 offset:184 ; 4-byte Folded Spill
	buffer_store_dword v118, off, s[60:63], 0 offset:188 ; 4-byte Folded Spill
	s_nop 0
	buffer_store_dword v119, off, s[60:63], 0 offset:192 ; 4-byte Folded Spill
	v_fma_f64 v[112:113], v[124:125], s[24:25], v[112:113]
	v_add_f64 v[12:13], v[112:113], v[12:13]
	v_fma_f64 v[112:113], v[126:127], s[24:25], -v[118:119]
	v_mul_f64 v[118:119], v[108:109], s[36:37]
	v_add_f64 v[14:15], v[112:113], v[14:15]
	v_mul_f64 v[112:113], v[110:111], s[36:37]
	buffer_store_dword v112, off, s[60:63], 0 offset:196 ; 4-byte Folded Spill
	s_nop 0
	buffer_store_dword v113, off, s[60:63], 0 offset:200 ; 4-byte Folded Spill
	buffer_store_dword v118, off, s[60:63], 0 offset:204 ; 4-byte Folded Spill
	s_nop 0
	buffer_store_dword v119, off, s[60:63], 0 offset:208 ; 4-byte Folded Spill
	;; [unrolled: 12-line block ×4, first 2 shown]
	v_fma_f64 v[112:113], v[124:125], s[18:19], v[112:113]
	v_add_f64 v[24:25], v[112:113], v[24:25]
	v_fma_f64 v[112:113], v[126:127], s[18:19], -v[118:119]
	v_add_f64 v[26:27], v[112:113], v[26:27]
	v_mul_f64 v[112:113], v[110:111], s[30:31]
	v_mul_f64 v[110:111], v[110:111], s[46:47]
	v_fma_f64 v[118:119], v[124:125], s[8:9], -v[112:113]
	v_fma_f64 v[112:113], v[124:125], s[8:9], v[112:113]
	v_add_f64 v[30:31], v[118:119], v[30:31]
	v_mul_f64 v[118:119], v[108:109], s[30:31]
	v_add_f64 v[28:29], v[112:113], v[28:29]
	v_mul_f64 v[108:109], v[108:109], s[46:47]
	v_fma_f64 v[112:113], v[126:127], s[8:9], -v[118:119]
	v_fma_f64 v[120:121], v[126:127], s[8:9], v[118:119]
	v_add_f64 v[32:33], v[112:113], v[32:33]
	v_fma_f64 v[112:113], v[124:125], s[4:5], -v[110:111]
	v_fma_f64 v[110:111], v[124:125], s[4:5], v[110:111]
	v_add_f64 v[34:35], v[120:121], v[34:35]
	v_add_f64 v[40:41], v[112:113], v[40:41]
	v_fma_f64 v[112:113], v[126:127], s[4:5], v[108:109]
	v_add_f64 v[2:3], v[110:111], v[2:3]
	v_fma_f64 v[108:109], v[126:127], s[4:5], -v[108:109]
	v_add_f64 v[110:111], v[98:99], -v[78:79]
	v_add_f64 v[42:43], v[112:113], v[42:43]
	v_add_f64 v[0:1], v[108:109], v[0:1]
	v_add_f64 v[108:109], v[96:97], -v[76:77]
	v_mul_f64 v[112:113], v[110:111], s[38:39]
	buffer_store_dword v112, off, s[60:63], 0 offset:212 ; 4-byte Folded Spill
	s_nop 0
	buffer_store_dword v113, off, s[60:63], 0 offset:216 ; 4-byte Folded Spill
	v_mul_f64 v[118:119], v[108:109], s[38:39]
	buffer_store_dword v118, off, s[60:63], 0 offset:220 ; 4-byte Folded Spill
	s_nop 0
	buffer_store_dword v119, off, s[60:63], 0 offset:224 ; 4-byte Folded Spill
	v_fma_f64 v[112:113], v[153:154], s[8:9], v[112:113]
	v_add_f64 v[4:5], v[112:113], v[4:5]
	v_fma_f64 v[112:113], v[155:156], s[8:9], -v[118:119]
	v_mul_f64 v[118:119], v[108:109], s[28:29]
	v_add_f64 v[6:7], v[112:113], v[6:7]
	v_mul_f64 v[112:113], v[110:111], s[28:29]
	buffer_store_dword v112, off, s[60:63], 0 offset:228 ; 4-byte Folded Spill
	s_nop 0
	buffer_store_dword v113, off, s[60:63], 0 offset:232 ; 4-byte Folded Spill
	buffer_store_dword v118, off, s[60:63], 0 offset:268 ; 4-byte Folded Spill
	s_nop 0
	buffer_store_dword v119, off, s[60:63], 0 offset:272 ; 4-byte Folded Spill
	v_fma_f64 v[112:113], v[153:154], s[24:25], v[112:113]
	v_add_f64 v[8:9], v[112:113], v[8:9]
	v_fma_f64 v[112:113], v[155:156], s[24:25], -v[118:119]
	v_mul_f64 v[118:119], v[108:109], s[44:45]
	v_add_f64 v[10:11], v[112:113], v[10:11]
	v_mul_f64 v[112:113], v[110:111], s[44:45]
	buffer_store_dword v112, off, s[60:63], 0 offset:276 ; 4-byte Folded Spill
	s_nop 0
	buffer_store_dword v113, off, s[60:63], 0 offset:280 ; 4-byte Folded Spill
	buffer_store_dword v118, off, s[60:63], 0 offset:284 ; 4-byte Folded Spill
	s_nop 0
	buffer_store_dword v119, off, s[60:63], 0 offset:288 ; 4-byte Folded Spill
	s_mov_b32 s45, 0x3fe58eea
	s_mov_b32 s44, s48
	v_fma_f64 v[112:113], v[153:154], s[20:21], v[112:113]
	v_add_f64 v[12:13], v[112:113], v[12:13]
	v_fma_f64 v[112:113], v[155:156], s[20:21], -v[118:119]
	v_mul_f64 v[118:119], v[108:109], s[50:51]
	v_add_f64 v[14:15], v[112:113], v[14:15]
	v_mul_f64 v[112:113], v[110:111], s[50:51]
	buffer_store_dword v112, off, s[60:63], 0 offset:292 ; 4-byte Folded Spill
	s_nop 0
	buffer_store_dword v113, off, s[60:63], 0 offset:296 ; 4-byte Folded Spill
	buffer_store_dword v118, off, s[60:63], 0 offset:316 ; 4-byte Folded Spill
	s_nop 0
	buffer_store_dword v119, off, s[60:63], 0 offset:320 ; 4-byte Folded Spill
	v_fma_f64 v[112:113], v[153:154], s[18:19], v[112:113]
	v_add_f64 v[16:17], v[112:113], v[16:17]
	v_fma_f64 v[112:113], v[155:156], s[18:19], -v[118:119]
	v_mul_f64 v[118:119], v[108:109], s[44:45]
	v_add_f64 v[18:19], v[112:113], v[18:19]
	v_mul_f64 v[112:113], v[110:111], s[44:45]
	buffer_store_dword v112, off, s[60:63], 0 offset:332 ; 4-byte Folded Spill
	s_nop 0
	buffer_store_dword v113, off, s[60:63], 0 offset:336 ; 4-byte Folded Spill
	buffer_store_dword v118, off, s[60:63], 0 offset:340 ; 4-byte Folded Spill
	s_nop 0
	buffer_store_dword v119, off, s[60:63], 0 offset:344 ; 4-byte Folded Spill
	;; [unrolled: 12-line block ×3, first 2 shown]
	v_fma_f64 v[112:113], v[153:154], s[4:5], v[112:113]
	v_add_f64 v[24:25], v[112:113], v[24:25]
	v_fma_f64 v[112:113], v[155:156], s[4:5], -v[118:119]
	v_add_f64 v[26:27], v[112:113], v[26:27]
	v_mul_f64 v[112:113], v[110:111], s[42:43]
	v_mul_f64 v[110:111], v[110:111], s[34:35]
	v_fma_f64 v[118:119], v[153:154], s[10:11], -v[112:113]
	v_fma_f64 v[112:113], v[153:154], s[10:11], v[112:113]
	v_add_f64 v[30:31], v[118:119], v[30:31]
	v_mul_f64 v[118:119], v[108:109], s[42:43]
	v_add_f64 v[28:29], v[112:113], v[28:29]
	v_mul_f64 v[108:109], v[108:109], s[34:35]
	v_fma_f64 v[112:113], v[155:156], s[10:11], -v[118:119]
	v_fma_f64 v[120:121], v[155:156], s[10:11], v[118:119]
	v_add_f64 v[32:33], v[112:113], v[32:33]
	v_fma_f64 v[112:113], v[153:154], s[16:17], -v[110:111]
	v_fma_f64 v[110:111], v[153:154], s[16:17], v[110:111]
	v_add_f64 v[34:35], v[120:121], v[34:35]
	v_add_f64 v[40:41], v[112:113], v[40:41]
	v_fma_f64 v[112:113], v[155:156], s[16:17], v[108:109]
	v_add_f64 v[2:3], v[110:111], v[2:3]
	v_fma_f64 v[108:109], v[155:156], s[16:17], -v[108:109]
	v_add_f64 v[110:111], v[102:103], -v[74:75]
	v_add_f64 v[42:43], v[112:113], v[42:43]
	v_add_f64 v[0:1], v[108:109], v[0:1]
	v_add_f64 v[108:109], v[100:101], -v[72:73]
	v_mul_f64 v[112:113], v[110:111], s[42:43]
	buffer_store_dword v112, off, s[60:63], 0 offset:300 ; 4-byte Folded Spill
	s_nop 0
	buffer_store_dword v113, off, s[60:63], 0 offset:304 ; 4-byte Folded Spill
	v_mul_f64 v[118:119], v[108:109], s[42:43]
	buffer_store_dword v118, off, s[60:63], 0 offset:308 ; 4-byte Folded Spill
	s_nop 0
	buffer_store_dword v119, off, s[60:63], 0 offset:312 ; 4-byte Folded Spill
	v_mul_f64 v[229:230], v[110:111], s[34:35]
	v_mul_f64 v[231:232], v[108:109], s[34:35]
	v_fma_f64 v[112:113], v[179:180], s[10:11], v[112:113]
	v_add_f64 v[4:5], v[112:113], v[4:5]
	v_fma_f64 v[112:113], v[181:182], s[10:11], -v[118:119]
	v_mul_f64 v[118:119], v[108:109], s[36:37]
	v_add_f64 v[6:7], v[112:113], v[6:7]
	v_mul_f64 v[112:113], v[110:111], s[36:37]
	buffer_store_dword v112, off, s[60:63], 0 offset:324 ; 4-byte Folded Spill
	s_nop 0
	buffer_store_dword v113, off, s[60:63], 0 offset:328 ; 4-byte Folded Spill
	buffer_store_dword v118, off, s[60:63], 0 offset:364 ; 4-byte Folded Spill
	s_nop 0
	buffer_store_dword v119, off, s[60:63], 0 offset:368 ; 4-byte Folded Spill
	v_fma_f64 v[112:113], v[179:180], s[20:21], v[112:113]
	v_add_f64 v[8:9], v[112:113], v[8:9]
	v_fma_f64 v[112:113], v[181:182], s[20:21], -v[118:119]
	v_mul_f64 v[118:119], v[108:109], s[50:51]
	v_add_f64 v[10:11], v[112:113], v[10:11]
	v_mul_f64 v[112:113], v[110:111], s[50:51]
	buffer_store_dword v112, off, s[60:63], 0 offset:372 ; 4-byte Folded Spill
	s_nop 0
	buffer_store_dword v113, off, s[60:63], 0 offset:376 ; 4-byte Folded Spill
	buffer_store_dword v118, off, s[60:63], 0 offset:380 ; 4-byte Folded Spill
	s_nop 0
	buffer_store_dword v119, off, s[60:63], 0 offset:384 ; 4-byte Folded Spill
	v_fma_f64 v[112:113], v[179:180], s[18:19], v[112:113]
	v_add_f64 v[12:13], v[112:113], v[12:13]
	v_fma_f64 v[112:113], v[181:182], s[18:19], -v[118:119]
	v_mul_f64 v[118:119], v[108:109], s[46:47]
	v_add_f64 v[14:15], v[112:113], v[14:15]
	v_mul_f64 v[112:113], v[110:111], s[46:47]
	buffer_store_dword v112, off, s[60:63], 0 offset:404 ; 4-byte Folded Spill
	s_nop 0
	buffer_store_dword v113, off, s[60:63], 0 offset:408 ; 4-byte Folded Spill
	buffer_store_dword v118, off, s[60:63], 0 offset:420 ; 4-byte Folded Spill
	s_nop 0
	buffer_store_dword v119, off, s[60:63], 0 offset:424 ; 4-byte Folded Spill
	v_fma_f64 v[112:113], v[179:180], s[4:5], v[112:113]
	v_add_f64 v[16:17], v[112:113], v[16:17]
	v_fma_f64 v[112:113], v[181:182], s[4:5], -v[118:119]
	v_mul_f64 v[118:119], v[108:109], s[38:39]
	v_add_f64 v[18:19], v[112:113], v[18:19]
	v_mul_f64 v[112:113], v[110:111], s[38:39]
	buffer_store_dword v112, off, s[60:63], 0 offset:428 ; 4-byte Folded Spill
	s_nop 0
	buffer_store_dword v113, off, s[60:63], 0 offset:432 ; 4-byte Folded Spill
	buffer_store_dword v118, off, s[60:63], 0 offset:436 ; 4-byte Folded Spill
	s_nop 0
	buffer_store_dword v119, off, s[60:63], 0 offset:440 ; 4-byte Folded Spill
	v_fma_f64 v[112:113], v[179:180], s[8:9], v[112:113]
	v_add_f64 v[20:21], v[112:113], v[20:21]
	v_fma_f64 v[112:113], v[181:182], s[8:9], -v[118:119]
	v_add_f64 v[22:23], v[112:113], v[22:23]
	v_fma_f64 v[112:113], v[179:180], s[16:17], v[229:230]
	v_add_f64 v[24:25], v[112:113], v[24:25]
	v_fma_f64 v[112:113], v[181:182], s[16:17], -v[231:232]
	v_add_f64 v[26:27], v[112:113], v[26:27]
	v_mul_f64 v[112:113], v[110:111], s[54:55]
	v_mul_f64 v[110:111], v[110:111], s[44:45]
	v_fma_f64 v[118:119], v[179:180], s[24:25], -v[112:113]
	v_fma_f64 v[112:113], v[179:180], s[24:25], v[112:113]
	v_add_f64 v[30:31], v[118:119], v[30:31]
	v_mul_f64 v[118:119], v[108:109], s[54:55]
	v_add_f64 v[28:29], v[112:113], v[28:29]
	v_mul_f64 v[108:109], v[108:109], s[44:45]
	v_fma_f64 v[112:113], v[181:182], s[24:25], -v[118:119]
	v_fma_f64 v[120:121], v[181:182], s[24:25], v[118:119]
	v_add_f64 v[32:33], v[112:113], v[32:33]
	v_fma_f64 v[112:113], v[179:180], s[22:23], -v[110:111]
	v_add_f64 v[34:35], v[120:121], v[34:35]
	v_fma_f64 v[110:111], v[179:180], s[22:23], v[110:111]
	v_add_f64 v[120:121], v[106:107], -v[70:71]
	v_add_f64 v[40:41], v[112:113], v[40:41]
	v_fma_f64 v[112:113], v[181:182], s[22:23], v[108:109]
	v_fma_f64 v[108:109], v[181:182], s[22:23], -v[108:109]
	v_add_f64 v[2:3], v[110:111], v[2:3]
	v_add_f64 v[110:111], v[104:105], -v[68:69]
	v_mul_f64 v[237:238], v[120:121], s[44:45]
	v_mul_f64 v[219:220], v[120:121], s[38:39]
	;; [unrolled: 1-line block ×3, first 2 shown]
	v_add_f64 v[42:43], v[112:113], v[42:43]
	v_add_f64 v[0:1], v[108:109], v[0:1]
	v_mul_f64 v[108:109], v[120:121], s[26:27]
	v_mul_f64 v[112:113], v[110:111], s[26:27]
	buffer_store_dword v108, off, s[60:63], 0 offset:388 ; 4-byte Folded Spill
	s_nop 0
	buffer_store_dword v109, off, s[60:63], 0 offset:392 ; 4-byte Folded Spill
	buffer_store_dword v112, off, s[60:63], 0 offset:396 ; 4-byte Folded Spill
	s_nop 0
	buffer_store_dword v113, off, s[60:63], 0 offset:400 ; 4-byte Folded Spill
	v_mul_f64 v[227:228], v[110:111], s[52:53]
	v_mul_f64 v[239:240], v[110:111], s[44:45]
	;; [unrolled: 1-line block ×3, first 2 shown]
	s_mov_b32 s39, 0x3fefdd0d
	s_mov_b32 s38, s42
	v_mul_f64 v[118:119], v[110:111], s[38:39]
	v_fma_f64 v[108:109], v[207:208], s[18:19], v[108:109]
	v_add_f64 v[4:5], v[108:109], v[4:5]
	v_fma_f64 v[108:109], v[209:210], s[18:19], -v[112:113]
	v_fma_f64 v[112:113], v[207:208], s[20:21], v[225:226]
	v_add_f64 v[6:7], v[108:109], v[6:7]
	v_mul_f64 v[108:109], v[120:121], s[52:53]
	buffer_store_dword v108, off, s[60:63], 0 offset:412 ; 4-byte Folded Spill
	s_nop 0
	buffer_store_dword v109, off, s[60:63], 0 offset:416 ; 4-byte Folded Spill
	v_add_f64 v[20:21], v[112:113], v[20:21]
	s_waitcnt vmcnt(0)
	s_barrier
	v_fma_f64 v[108:109], v[207:208], s[16:17], v[108:109]
	v_add_f64 v[8:9], v[108:109], v[8:9]
	v_fma_f64 v[108:109], v[209:210], s[16:17], -v[227:228]
	v_add_f64 v[10:11], v[108:109], v[10:11]
	v_fma_f64 v[108:109], v[207:208], s[22:23], v[237:238]
	v_add_f64 v[12:13], v[108:109], v[12:13]
	v_fma_f64 v[108:109], v[209:210], s[22:23], -v[239:240]
	v_add_f64 v[14:15], v[108:109], v[14:15]
	;; [unrolled: 4-line block ×3, first 2 shown]
	v_mul_f64 v[108:109], v[110:111], s[36:37]
	v_fma_f64 v[112:113], v[209:210], s[20:21], -v[108:109]
	v_add_f64 v[22:23], v[112:113], v[22:23]
	v_mul_f64 v[112:113], v[120:121], s[38:39]
	v_fma_f64 v[122:123], v[207:208], s[10:11], v[112:113]
	v_add_f64 v[24:25], v[122:123], v[24:25]
	v_fma_f64 v[122:123], v[209:210], s[10:11], -v[118:119]
	v_add_f64 v[26:27], v[122:123], v[26:27]
	v_mul_f64 v[122:123], v[120:121], s[40:41]
	v_mul_f64 v[120:121], v[120:121], s[28:29]
	v_fma_f64 v[128:129], v[207:208], s[4:5], -v[122:123]
	v_fma_f64 v[122:123], v[207:208], s[4:5], v[122:123]
	v_add_f64 v[30:31], v[128:129], v[30:31]
	v_mul_f64 v[128:129], v[110:111], s[40:41]
	v_add_f64 v[28:29], v[122:123], v[28:29]
	v_mul_f64 v[110:111], v[110:111], s[28:29]
	v_fma_f64 v[122:123], v[209:210], s[4:5], -v[128:129]
	v_fma_f64 v[130:131], v[209:210], s[4:5], v[128:129]
	v_add_f64 v[32:33], v[122:123], v[32:33]
	v_fma_f64 v[122:123], v[207:208], s[24:25], -v[120:121]
	v_fma_f64 v[120:121], v[207:208], s[24:25], v[120:121]
	v_add_f64 v[34:35], v[130:131], v[34:35]
	v_add_f64 v[40:41], v[122:123], v[40:41]
	v_fma_f64 v[122:123], v[209:210], s[24:25], v[110:111]
	v_add_f64 v[2:3], v[120:121], v[2:3]
	v_fma_f64 v[110:111], v[209:210], s[24:25], -v[110:111]
	v_add_f64 v[120:121], v[52:53], -v[64:65]
	v_add_f64 v[42:43], v[122:123], v[42:43]
	v_add_f64 v[122:123], v[54:55], -v[66:67]
	v_add_f64 v[0:1], v[110:111], v[0:1]
	v_mul_f64 v[217:218], v[120:121], s[28:29]
	v_mul_f64 v[138:139], v[120:121], s[34:35]
	;; [unrolled: 1-line block ×10, first 2 shown]
	v_fma_f64 v[110:111], v[233:234], s[24:25], v[241:242]
	v_fma_f64 v[128:129], v[233:234], s[18:19], v[221:222]
	;; [unrolled: 1-line block ×3, first 2 shown]
	v_add_f64 v[4:5], v[110:111], v[4:5]
	v_fma_f64 v[110:111], v[235:236], s[24:25], -v[217:218]
	v_add_f64 v[8:9], v[128:129], v[8:9]
	v_add_f64 v[12:13], v[130:131], v[12:13]
	;; [unrolled: 1-line block ×3, first 2 shown]
	v_mul_f64 v[110:111], v[120:121], s[50:51]
	v_fma_f64 v[128:129], v[235:236], s[18:19], -v[110:111]
	v_add_f64 v[10:11], v[128:129], v[10:11]
	v_mul_f64 v[128:129], v[120:121], s[40:41]
	v_fma_f64 v[130:131], v[235:236], s[4:5], -v[128:129]
	v_add_f64 v[14:15], v[130:131], v[14:15]
	v_fma_f64 v[130:131], v[233:234], s[16:17], v[136:137]
	v_add_f64 v[16:17], v[130:131], v[16:17]
	v_fma_f64 v[130:131], v[235:236], s[16:17], -v[138:139]
	v_add_f64 v[18:19], v[130:131], v[18:19]
	v_fma_f64 v[130:131], v[233:234], s[10:11], v[144:145]
	v_add_f64 v[20:21], v[130:131], v[20:21]
	;; [unrolled: 4-line block ×3, first 2 shown]
	v_fma_f64 v[130:131], v[235:236], s[22:23], -v[159:160]
	v_add_f64 v[26:27], v[130:131], v[26:27]
	v_mul_f64 v[130:131], v[122:123], s[36:37]
	v_mul_f64 v[122:123], v[122:123], s[30:31]
	v_fma_f64 v[132:133], v[233:234], s[20:21], -v[130:131]
	v_fma_f64 v[130:131], v[233:234], s[20:21], v[130:131]
	v_add_f64 v[30:31], v[132:133], v[30:31]
	v_mul_f64 v[132:133], v[120:121], s[36:37]
	v_add_f64 v[28:29], v[130:131], v[28:29]
	v_mul_f64 v[120:121], v[120:121], s[30:31]
	v_fma_f64 v[130:131], v[235:236], s[20:21], -v[132:133]
	v_fma_f64 v[134:135], v[235:236], s[20:21], v[132:133]
	v_mul_f64 v[132:133], v[150:151], s[34:35]
	v_add_f64 v[32:33], v[130:131], v[32:33]
	v_fma_f64 v[130:131], v[233:234], s[8:9], -v[122:123]
	v_fma_f64 v[122:123], v[233:234], s[8:9], v[122:123]
	v_add_f64 v[34:35], v[134:135], v[34:35]
	v_add_f64 v[40:41], v[130:131], v[40:41]
	v_fma_f64 v[130:131], v[235:236], s[8:9], v[120:121]
	v_fma_f64 v[120:121], v[235:236], s[8:9], -v[120:121]
	v_add_f64 v[2:3], v[122:123], v[2:3]
	v_add_f64 v[122:123], v[46:47], v[62:63]
	;; [unrolled: 1-line block ×5, first 2 shown]
	v_mul_f64 v[130:131], v[157:158], s[34:35]
	v_fma_f64 v[134:135], v[120:121], s[16:17], v[130:131]
	v_add_f64 v[4:5], v[134:135], v[4:5]
	v_fma_f64 v[134:135], v[122:123], s[16:17], -v[132:133]
	v_add_f64 v[6:7], v[134:135], v[6:7]
	v_mul_f64 v[134:135], v[157:158], s[30:31]
	v_fma_f64 v[142:143], v[120:121], s[8:9], v[134:135]
	v_add_f64 v[8:9], v[142:143], v[8:9]
	v_fma_f64 v[142:143], v[122:123], s[8:9], -v[140:141]
	v_add_f64 v[10:11], v[142:143], v[10:11]
	v_mul_f64 v[142:143], v[157:158], s[42:43]
	v_fma_f64 v[163:164], v[120:121], s[10:11], v[142:143]
	v_add_f64 v[191:192], v[163:164], v[12:13]
	v_fma_f64 v[12:13], v[122:123], s[10:11], -v[161:162]
	v_mul_f64 v[163:164], v[157:158], s[44:45]
	v_mul_f64 v[157:158], v[157:158], s[26:27]
	v_add_f64 v[195:196], v[12:13], v[14:15]
	v_fma_f64 v[12:13], v[120:121], s[24:25], v[167:168]
	v_fma_f64 v[14:15], v[122:123], s[24:25], -v[169:170]
	v_add_f64 v[12:13], v[12:13], v[16:17]
	v_fma_f64 v[16:17], v[120:121], s[4:5], v[171:172]
	v_add_f64 v[14:15], v[14:15], v[18:19]
	v_fma_f64 v[18:19], v[122:123], s[4:5], -v[173:174]
	v_add_f64 v[16:17], v[16:17], v[20:21]
	v_fma_f64 v[20:21], v[120:121], s[20:21], v[177:178]
	v_add_f64 v[18:19], v[18:19], v[22:23]
	v_fma_f64 v[22:23], v[122:123], s[20:21], -v[183:184]
	v_add_f64 v[20:21], v[20:21], v[24:25]
	v_fma_f64 v[24:25], v[120:121], s[22:23], -v[163:164]
	v_add_f64 v[22:23], v[22:23], v[26:27]
	v_add_f64 v[24:25], v[24:25], v[30:31]
	v_mul_f64 v[30:31], v[150:151], s[44:45]
	v_mul_f64 v[150:151], v[150:151], s[26:27]
	v_fma_f64 v[26:27], v[122:123], s[22:23], v[30:31]
	v_fma_f64 v[30:31], v[122:123], s[22:23], -v[30:31]
	v_add_f64 v[26:27], v[26:27], v[34:35]
	v_add_f64 v[30:31], v[30:31], v[32:33]
	v_fma_f64 v[32:33], v[120:121], s[18:19], -v[157:158]
	v_fma_f64 v[34:35], v[120:121], s[22:23], v[163:164]
	v_mul_f64 v[163:164], v[199:200], s[36:37]
	v_add_f64 v[32:33], v[32:33], v[40:41]
	v_fma_f64 v[40:41], v[120:121], s[18:19], v[157:158]
	v_add_f64 v[28:29], v[34:35], v[28:29]
	v_fma_f64 v[34:35], v[122:123], s[18:19], v[150:151]
	v_add_f64 v[157:158], v[50:51], v[58:59]
	v_add_f64 v[40:41], v[40:41], v[2:3]
	v_fma_f64 v[2:3], v[122:123], s[18:19], -v[150:151]
	v_add_f64 v[150:151], v[48:49], v[56:57]
	v_add_f64 v[34:35], v[34:35], v[42:43]
	;; [unrolled: 1-line block ×3, first 2 shown]
	v_fma_f64 v[0:1], v[150:151], s[20:21], v[163:164]
	v_fma_f64 v[2:3], v[157:158], s[20:21], -v[165:166]
	v_add_f64 v[244:245], v[0:1], v[4:5]
	v_fma_f64 v[4:5], v[150:151], s[4:5], v[175:176]
	v_add_f64 v[246:247], v[2:3], v[6:7]
	v_fma_f64 v[6:7], v[157:158], s[4:5], -v[185:186]
	buffer_load_dword v0, off, s[60:63], 0  ; 4-byte Folded Reload
	v_add_f64 v[4:5], v[4:5], v[8:9]
	v_fma_f64 v[8:9], v[150:151], s[16:17], v[187:188]
	v_add_f64 v[6:7], v[6:7], v[10:11]
	v_fma_f64 v[10:11], v[157:158], s[16:17], -v[189:190]
	v_add_f64 v[248:249], v[8:9], v[191:192]
	v_mul_f64 v[191:192], v[199:200], s[44:45]
	v_add_f64 v[250:251], v[10:11], v[195:196]
	v_mul_f64 v[195:196], v[193:194], s[44:45]
	v_fma_f64 v[197:198], v[150:151], s[22:23], v[191:192]
	v_add_f64 v[12:13], v[197:198], v[12:13]
	v_fma_f64 v[197:198], v[157:158], s[22:23], -v[195:196]
	v_add_f64 v[14:15], v[197:198], v[14:15]
	v_mul_f64 v[197:198], v[199:200], s[28:29]
	v_mov_b32_e32 v8, v12
	v_mov_b32_e32 v9, v13
	;; [unrolled: 1-line block ×3, first 2 shown]
	v_fma_f64 v[203:204], v[150:151], s[24:25], v[197:198]
	v_mov_b32_e32 v11, v15
	v_add_f64 v[16:17], v[203:204], v[16:17]
	v_fma_f64 v[203:204], v[157:158], s[24:25], -v[201:202]
	v_add_f64 v[18:19], v[203:204], v[18:19]
	v_mul_f64 v[203:204], v[199:200], s[30:31]
	v_mov_b32_e32 v12, v16
	v_mov_b32_e32 v13, v17
	;; [unrolled: 1-line block ×3, first 2 shown]
	v_fma_f64 v[211:212], v[150:151], s[8:9], v[203:204]
	v_mov_b32_e32 v15, v19
	s_waitcnt vmcnt(0)
	v_mul_lo_u16_e32 v252, 17, v0
	v_add_f64 v[20:21], v[211:212], v[20:21]
	v_fma_f64 v[211:212], v[157:158], s[8:9], -v[205:206]
	v_add_f64 v[22:23], v[211:212], v[22:23]
	v_mul_f64 v[211:212], v[199:200], s[26:27]
	v_mov_b32_e32 v16, v20
	v_mov_b32_e32 v17, v21
	v_mul_f64 v[199:200], v[199:200], s[38:39]
	v_mov_b32_e32 v18, v22
	v_fma_f64 v[213:214], v[150:151], s[18:19], -v[211:212]
	v_mov_b32_e32 v19, v23
	v_fma_f64 v[211:212], v[150:151], s[18:19], v[211:212]
	v_add_f64 v[20:21], v[213:214], v[24:25]
	v_mul_f64 v[213:214], v[193:194], s[26:27]
	v_add_f64 v[24:25], v[211:212], v[28:29]
	v_mul_f64 v[193:194], v[193:194], s[38:39]
	v_fma_f64 v[215:216], v[157:158], s[18:19], v[213:214]
	v_fma_f64 v[211:212], v[157:158], s[18:19], -v[213:214]
	v_add_f64 v[22:23], v[215:216], v[26:27]
	v_add_f64 v[26:27], v[211:212], v[30:31]
	v_fma_f64 v[211:212], v[150:151], s[10:11], -v[199:200]
	v_fma_f64 v[199:200], v[150:151], s[10:11], v[199:200]
	v_add_f64 v[28:29], v[211:212], v[32:33]
	v_fma_f64 v[211:212], v[157:158], s[10:11], v[193:194]
	v_fma_f64 v[193:194], v[157:158], s[10:11], -v[193:194]
	v_add_f64 v[32:33], v[199:200], v[40:41]
	v_add_f64 v[30:31], v[211:212], v[34:35]
	;; [unrolled: 1-line block ×3, first 2 shown]
	s_and_saveexec_b64 s[26:27], s[0:1]
	s_cbranch_execz .LBB0_7
; %bb.6:
	buffer_load_dword v0, off, s[60:63], 0 offset:356 ; 4-byte Folded Reload
	buffer_load_dword v1, off, s[60:63], 0 offset:360 ; 4-byte Folded Reload
	v_add_f64 v[90:91], v[38:39], v[90:91]
	v_add_f64 v[88:89], v[36:37], v[88:89]
	v_mul_f64 v[193:194], v[181:182], s[10:11]
	v_mul_f64 v[199:200], v[207:208], s[16:17]
	;; [unrolled: 1-line block ×3, first 2 shown]
	v_add_f64 v[90:91], v[90:91], v[94:95]
	v_add_f64 v[88:89], v[88:89], v[92:93]
	v_mul_f64 v[92:93], v[122:123], s[20:21]
	v_add_f64 v[90:91], v[90:91], v[98:99]
	v_add_f64 v[88:89], v[88:89], v[96:97]
	v_mul_f64 v[96:97], v[235:236], s[22:23]
	v_mul_f64 v[98:99], v[209:210], s[10:11]
	v_add_f64 v[92:93], v[183:184], v[92:93]
	v_mul_f64 v[183:184], v[153:154], s[24:25]
	v_add_f64 v[90:91], v[90:91], v[102:103]
	;; [unrolled: 2-line block ×3, first 2 shown]
	v_add_f64 v[96:97], v[159:160], v[96:97]
	v_mul_f64 v[159:160], v[114:115], s[24:25]
	v_mul_f64 v[100:101], v[181:182], s[16:17]
	v_add_f64 v[98:99], v[118:119], v[98:99]
	v_mul_f64 v[118:119], v[150:151], s[8:9]
	v_add_f64 v[90:91], v[90:91], v[106:107]
	;; [unrolled: 2-line block ×3, first 2 shown]
	v_mul_f64 v[104:105], v[126:127], s[18:19]
	v_mul_f64 v[88:89], v[157:158], s[8:9]
	v_add_f64 v[100:101], v[231:232], v[100:101]
	v_add_f64 v[118:119], v[118:119], -v[203:204]
	v_add_f64 v[54:55], v[90:91], v[54:55]
	v_mul_f64 v[203:204], v[235:236], s[24:25]
	v_add_f64 v[52:53], v[94:95], v[52:53]
	v_add_f64 v[88:89], v[205:206], v[88:89]
	v_mul_f64 v[205:206], v[235:236], s[18:19]
	v_add_f64 v[46:47], v[54:55], v[46:47]
	v_add_f64 v[44:45], v[52:53], v[44:45]
	;; [unrolled: 1-line block ×3, first 2 shown]
	v_mul_f64 v[205:206], v[157:158], s[4:5]
	v_add_f64 v[46:47], v[46:47], v[50:51]
	v_add_f64 v[44:45], v[44:45], v[48:49]
	;; [unrolled: 1-line block ×6, first 2 shown]
	s_waitcnt vmcnt(0)
	v_add_f64 v[102:103], v[0:1], v[102:103]
	buffer_load_dword v0, off, s[60:63], 0 offset:260 ; 4-byte Folded Reload
	buffer_load_dword v1, off, s[60:63], 0 offset:264 ; 4-byte Folded Reload
	v_add_f64 v[46:47], v[46:47], v[66:67]
	v_add_f64 v[44:45], v[44:45], v[64:65]
	;; [unrolled: 1-line block ×10, first 2 shown]
	s_waitcnt vmcnt(0)
	v_add_f64 v[104:105], v[0:1], v[104:105]
	buffer_load_dword v0, off, s[60:63], 0 offset:164 ; 4-byte Folded Reload
	buffer_load_dword v1, off, s[60:63], 0 offset:168 ; 4-byte Folded Reload
	s_waitcnt vmcnt(0)
	v_add_f64 v[106:107], v[0:1], v[106:107]
	buffer_load_dword v0, off, s[60:63], 0 offset:348 ; 4-byte Folded Reload
	buffer_load_dword v1, off, s[60:63], 0 offset:352 ; 4-byte Folded Reload
	v_add_f64 v[106:107], v[38:39], v[106:107]
	v_add_f64 v[104:105], v[104:105], v[106:107]
	v_mul_f64 v[106:107], v[120:121], s[20:21]
	v_add_f64 v[102:103], v[102:103], v[104:105]
	v_mul_f64 v[104:105], v[153:154], s[4:5]
	v_add_f64 v[106:107], v[106:107], -v[177:178]
	v_mul_f64 v[177:178], v[124:125], s[18:19]
	v_add_f64 v[100:101], v[100:101], v[102:103]
	v_add_f64 v[98:99], v[98:99], v[100:101]
	v_mul_f64 v[100:101], v[233:234], s[22:23]
	v_add_f64 v[96:97], v[96:97], v[98:99]
	v_add_f64 v[100:101], v[100:101], -v[148:149]
	v_mul_f64 v[148:149], v[126:127], s[24:25]
	v_add_f64 v[92:93], v[92:93], v[96:97]
	v_mul_f64 v[96:97], v[181:182], s[8:9]
	v_add_f64 v[88:89], v[88:89], v[92:93]
	s_waitcnt vmcnt(0)
	v_add_f64 v[104:105], v[104:105], -v[0:1]
	buffer_load_dword v0, off, s[60:63], 0 offset:156 ; 4-byte Folded Reload
	buffer_load_dword v1, off, s[60:63], 0 offset:160 ; 4-byte Folded Reload
	s_waitcnt vmcnt(0)
	v_add_f64 v[159:160], v[159:160], -v[0:1]
	buffer_load_dword v0, off, s[60:63], 0 offset:252 ; 4-byte Folded Reload
	buffer_load_dword v1, off, s[60:63], 0 offset:256 ; 4-byte Folded Reload
	v_add_f64 v[102:103], v[36:37], v[159:160]
	v_mul_f64 v[159:160], v[179:180], s[16:17]
	v_add_f64 v[159:160], v[159:160], -v[229:230]
	s_waitcnt vmcnt(0)
	v_add_f64 v[177:178], v[177:178], -v[0:1]
	buffer_load_dword v0, off, s[60:63], 0 offset:340 ; 4-byte Folded Reload
	buffer_load_dword v1, off, s[60:63], 0 offset:344 ; 4-byte Folded Reload
	v_add_f64 v[102:103], v[177:178], v[102:103]
	v_mul_f64 v[177:178], v[155:156], s[8:9]
	v_add_f64 v[102:103], v[104:105], v[102:103]
	v_mul_f64 v[104:105], v[207:208], s[10:11]
	v_add_f64 v[102:103], v[159:160], v[102:103]
	v_add_f64 v[104:105], v[104:105], -v[112:113]
	v_mul_f64 v[112:113], v[126:127], s[20:21]
	v_mul_f64 v[159:160], v[120:121], s[24:25]
	v_add_f64 v[102:103], v[104:105], v[102:103]
	v_mul_f64 v[104:105], v[155:156], s[22:23]
	v_add_f64 v[159:160], v[159:160], -v[167:168]
	v_mul_f64 v[167:168], v[235:236], s[4:5]
	v_add_f64 v[98:99], v[100:101], v[102:103]
	v_mul_f64 v[100:101], v[116:117], s[18:19]
	v_mul_f64 v[102:103], v[126:127], s[16:17]
	v_add_f64 v[128:129], v[128:129], v[167:168]
	v_mul_f64 v[167:168], v[122:123], s[10:11]
	v_add_f64 v[98:99], v[106:107], v[98:99]
	;; [unrolled: 2-line block ×3, first 2 shown]
	v_mul_f64 v[167:168], v[126:127], s[22:23]
	v_mul_f64 v[126:127], v[126:127], s[10:11]
	s_waitcnt vmcnt(0)
	v_add_f64 v[104:105], v[0:1], v[104:105]
	buffer_load_dword v0, off, s[60:63], 0 offset:124 ; 4-byte Folded Reload
	buffer_load_dword v1, off, s[60:63], 0 offset:128 ; 4-byte Folded Reload
	s_waitcnt vmcnt(0)
	v_add_f64 v[100:101], v[0:1], v[100:101]
	buffer_load_dword v0, off, s[60:63], 0 offset:244 ; 4-byte Folded Reload
	buffer_load_dword v1, off, s[60:63], 0 offset:248 ; 4-byte Folded Reload
	v_add_f64 v[100:101], v[38:39], v[100:101]
	s_waitcnt vmcnt(0)
	v_add_f64 v[102:103], v[0:1], v[102:103]
	buffer_load_dword v0, off, s[60:63], 0 offset:436 ; 4-byte Folded Reload
	buffer_load_dword v1, off, s[60:63], 0 offset:440 ; 4-byte Folded Reload
	v_add_f64 v[100:101], v[102:103], v[100:101]
	v_mul_f64 v[102:103], v[209:210], s[20:21]
	v_add_f64 v[100:101], v[104:105], v[100:101]
	v_add_f64 v[102:103], v[108:109], v[102:103]
	v_mul_f64 v[104:105], v[114:115], s[18:19]
	v_mul_f64 v[108:109], v[116:117], s[10:11]
	s_waitcnt vmcnt(0)
	v_add_f64 v[96:97], v[0:1], v[96:97]
	buffer_load_dword v0, off, s[60:63], 0 offset:332 ; 4-byte Folded Reload
	buffer_load_dword v1, off, s[60:63], 0 offset:336 ; 4-byte Folded Reload
	v_add_f64 v[96:97], v[96:97], v[100:101]
	v_mul_f64 v[100:101], v[235:236], s[10:11]
	v_add_f64 v[96:97], v[102:103], v[96:97]
	v_add_f64 v[100:101], v[146:147], v[100:101]
	v_mul_f64 v[102:103], v[122:123], s[4:5]
	v_mul_f64 v[146:147], v[116:117], s[8:9]
	v_add_f64 v[96:97], v[100:101], v[96:97]
	v_add_f64 v[102:103], v[173:174], v[102:103]
	v_mul_f64 v[173:174], v[153:154], s[8:9]
	v_mul_f64 v[100:101], v[157:158], s[24:25]
	v_add_f64 v[96:97], v[102:103], v[96:97]
	v_mul_f64 v[102:103], v[153:154], s[22:23]
	v_add_f64 v[100:101], v[201:202], v[100:101]
	;; [unrolled: 2-line block ×3, first 2 shown]
	v_add_f64 v[201:202], v[227:228], v[201:202]
	s_waitcnt vmcnt(0)
	v_add_f64 v[102:103], v[102:103], -v[0:1]
	buffer_load_dword v0, off, s[60:63], 0 offset:116 ; 4-byte Folded Reload
	buffer_load_dword v1, off, s[60:63], 0 offset:120 ; 4-byte Folded Reload
	s_waitcnt vmcnt(0)
	v_add_f64 v[104:105], v[104:105], -v[0:1]
	buffer_load_dword v0, off, s[60:63], 0 offset:236 ; 4-byte Folded Reload
	buffer_load_dword v1, off, s[60:63], 0 offset:240 ; 4-byte Folded Reload
	v_add_f64 v[104:105], v[36:37], v[104:105]
	s_waitcnt vmcnt(0)
	v_add_f64 v[106:107], v[106:107], -v[0:1]
	buffer_load_dword v0, off, s[60:63], 0 offset:428 ; 4-byte Folded Reload
	buffer_load_dword v1, off, s[60:63], 0 offset:432 ; 4-byte Folded Reload
	v_add_f64 v[104:105], v[106:107], v[104:105]
	v_mul_f64 v[106:107], v[179:180], s[8:9]
	v_add_f64 v[102:103], v[102:103], v[104:105]
	v_mul_f64 v[104:105], v[207:208], s[20:21]
	v_add_f64 v[104:105], v[104:105], -v[225:226]
	s_waitcnt vmcnt(0)
	v_add_f64 v[106:107], v[106:107], -v[0:1]
	buffer_load_dword v0, off, s[60:63], 0 offset:316 ; 4-byte Folded Reload
	buffer_load_dword v1, off, s[60:63], 0 offset:320 ; 4-byte Folded Reload
	v_add_f64 v[102:103], v[106:107], v[102:103]
	v_mul_f64 v[106:107], v[233:234], s[10:11]
	v_add_f64 v[102:103], v[104:105], v[102:103]
	v_add_f64 v[106:107], v[106:107], -v[144:145]
	v_mul_f64 v[104:105], v[120:121], s[4:5]
	v_mul_f64 v[144:145], v[124:125], s[20:21]
	v_add_f64 v[102:103], v[106:107], v[102:103]
	v_add_f64 v[104:105], v[104:105], -v[171:172]
	v_mul_f64 v[171:172], v[207:208], s[22:23]
	v_mul_f64 v[106:107], v[150:151], s[24:25]
	v_add_f64 v[102:103], v[104:105], v[102:103]
	v_mul_f64 v[104:105], v[155:156], s[18:19]
	v_add_f64 v[171:172], v[171:172], -v[237:238]
	v_add_f64 v[106:107], v[106:107], -v[197:198]
	v_mul_f64 v[197:198], v[209:210], s[18:19]
	s_waitcnt vmcnt(0)
	v_add_f64 v[104:105], v[0:1], v[104:105]
	buffer_load_dword v0, off, s[60:63], 0 offset:108 ; 4-byte Folded Reload
	buffer_load_dword v1, off, s[60:63], 0 offset:112 ; 4-byte Folded Reload
	s_waitcnt vmcnt(0)
	v_add_f64 v[108:109], v[0:1], v[108:109]
	buffer_load_dword v0, off, s[60:63], 0 offset:204 ; 4-byte Folded Reload
	buffer_load_dword v1, off, s[60:63], 0 offset:208 ; 4-byte Folded Reload
	v_add_f64 v[108:109], v[38:39], v[108:109]
	s_waitcnt vmcnt(0)
	v_add_f64 v[112:113], v[0:1], v[112:113]
	buffer_load_dword v0, off, s[60:63], 0 offset:420 ; 4-byte Folded Reload
	buffer_load_dword v1, off, s[60:63], 0 offset:424 ; 4-byte Folded Reload
	v_add_f64 v[108:109], v[112:113], v[108:109]
	v_mul_f64 v[112:113], v[181:182], s[4:5]
	v_add_f64 v[104:105], v[104:105], v[108:109]
	v_mul_f64 v[108:109], v[209:210], s[8:9]
	v_add_f64 v[108:109], v[223:224], v[108:109]
	s_waitcnt vmcnt(0)
	v_add_f64 v[112:113], v[0:1], v[112:113]
	buffer_load_dword v0, off, s[60:63], 0 offset:292 ; 4-byte Folded Reload
	buffer_load_dword v1, off, s[60:63], 0 offset:296 ; 4-byte Folded Reload
	v_add_f64 v[104:105], v[112:113], v[104:105]
	v_mul_f64 v[112:113], v[235:236], s[16:17]
	v_add_f64 v[104:105], v[108:109], v[104:105]
	v_add_f64 v[112:113], v[138:139], v[112:113]
	v_mul_f64 v[108:109], v[122:123], s[24:25]
	v_mul_f64 v[138:139], v[114:115], s[10:11]
	v_add_f64 v[104:105], v[112:113], v[104:105]
	v_add_f64 v[108:109], v[169:170], v[108:109]
	v_mul_f64 v[169:170], v[116:117], s[4:5]
	v_mul_f64 v[116:117], v[116:117], s[22:23]
	;; [unrolled: 1-line block ×4, first 2 shown]
	v_add_f64 v[104:105], v[108:109], v[104:105]
	v_mul_f64 v[108:109], v[233:234], s[16:17]
	v_add_f64 v[112:113], v[195:196], v[112:113]
	v_mul_f64 v[195:196], v[207:208], s[18:19]
	v_add_f64 v[90:91], v[189:190], v[157:158]
	v_add_f64 v[108:109], v[108:109], -v[136:137]
	v_mul_f64 v[136:137], v[153:154], s[18:19]
	v_mul_f64 v[153:154], v[153:154], s[20:21]
	v_add_f64 v[96:97], v[112:113], v[104:105]
	s_waitcnt vmcnt(0)
	v_add_f64 v[136:137], v[136:137], -v[0:1]
	buffer_load_dword v0, off, s[60:63], 0 offset:100 ; 4-byte Folded Reload
	buffer_load_dword v1, off, s[60:63], 0 offset:104 ; 4-byte Folded Reload
	s_waitcnt vmcnt(0)
	v_add_f64 v[138:139], v[138:139], -v[0:1]
	buffer_load_dword v0, off, s[60:63], 0 offset:196 ; 4-byte Folded Reload
	buffer_load_dword v1, off, s[60:63], 0 offset:200 ; 4-byte Folded Reload
	v_add_f64 v[138:139], v[36:37], v[138:139]
	s_waitcnt vmcnt(0)
	v_add_f64 v[144:145], v[144:145], -v[0:1]
	buffer_load_dword v0, off, s[60:63], 0 offset:404 ; 4-byte Folded Reload
	buffer_load_dword v1, off, s[60:63], 0 offset:408 ; 4-byte Folded Reload
	v_add_f64 v[138:139], v[144:145], v[138:139]
	v_mul_f64 v[144:145], v[179:180], s[4:5]
	v_add_f64 v[136:137], v[136:137], v[138:139]
	v_mul_f64 v[138:139], v[207:208], s[8:9]
	v_mul_f64 v[207:208], v[233:234], s[4:5]
	v_add_f64 v[138:139], v[138:139], -v[219:220]
	v_add_f64 v[94:95], v[207:208], -v[253:254]
	s_waitcnt vmcnt(0)
	v_add_f64 v[144:145], v[144:145], -v[0:1]
	buffer_load_dword v0, off, s[60:63], 0 offset:284 ; 4-byte Folded Reload
	buffer_load_dword v1, off, s[60:63], 0 offset:288 ; 4-byte Folded Reload
	v_add_f64 v[136:137], v[144:145], v[136:137]
	v_mul_f64 v[144:145], v[155:156], s[20:21]
	v_mul_f64 v[155:156], v[155:156], s[24:25]
	v_add_f64 v[136:137], v[138:139], v[136:137]
	v_mul_f64 v[138:139], v[114:115], s[4:5]
	v_add_f64 v[108:109], v[108:109], v[136:137]
	v_mul_f64 v[136:137], v[114:115], s[22:23]
	v_mul_f64 v[114:115], v[114:115], s[8:9]
	v_add_f64 v[108:109], v[159:160], v[108:109]
	v_mul_f64 v[159:160], v[179:180], s[18:19]
	s_waitcnt vmcnt(0)
	v_add_f64 v[144:145], v[0:1], v[144:145]
	buffer_load_dword v0, off, s[60:63], 0 offset:84 ; 4-byte Folded Reload
	buffer_load_dword v1, off, s[60:63], 0 offset:88 ; 4-byte Folded Reload
	s_waitcnt vmcnt(0)
	v_add_f64 v[146:147], v[0:1], v[146:147]
	buffer_load_dword v0, off, s[60:63], 0 offset:188 ; 4-byte Folded Reload
	buffer_load_dword v1, off, s[60:63], 0 offset:192 ; 4-byte Folded Reload
	v_add_f64 v[146:147], v[38:39], v[146:147]
	s_waitcnt vmcnt(0)
	v_add_f64 v[148:149], v[0:1], v[148:149]
	buffer_load_dword v0, off, s[60:63], 0 offset:380 ; 4-byte Folded Reload
	buffer_load_dword v1, off, s[60:63], 0 offset:384 ; 4-byte Folded Reload
	v_add_f64 v[146:147], v[148:149], v[146:147]
	v_mul_f64 v[148:149], v[181:182], s[18:19]
	v_mul_f64 v[181:182], v[181:182], s[20:21]
	v_add_f64 v[144:145], v[144:145], v[146:147]
	v_mul_f64 v[146:147], v[209:210], s[22:23]
	v_mul_f64 v[209:210], v[122:123], s[16:17]
	;; [unrolled: 1-line block ×3, first 2 shown]
	v_add_f64 v[146:147], v[239:240], v[146:147]
	s_waitcnt vmcnt(0)
	v_add_f64 v[148:149], v[0:1], v[148:149]
	buffer_load_dword v0, off, s[60:63], 0 offset:372 ; 4-byte Folded Reload
	buffer_load_dword v1, off, s[60:63], 0 offset:376 ; 4-byte Folded Reload
	v_add_f64 v[144:145], v[148:149], v[144:145]
	v_mul_f64 v[148:149], v[150:151], s[22:23]
	v_add_f64 v[144:145], v[146:147], v[144:145]
	v_mul_f64 v[146:147], v[124:125], s[22:23]
	v_add_f64 v[148:149], v[148:149], -v[191:192]
	v_mul_f64 v[191:192], v[179:180], s[10:11]
	v_mul_f64 v[179:180], v[179:180], s[20:21]
	v_add_f64 v[128:129], v[128:129], v[144:145]
	v_mul_f64 v[144:145], v[124:125], s[10:11]
	v_mul_f64 v[124:125], v[124:125], s[24:25]
	v_add_f64 v[112:113], v[161:162], v[128:129]
	s_waitcnt vmcnt(0)
	v_add_f64 v[159:160], v[159:160], -v[0:1]
	buffer_load_dword v0, off, s[60:63], 0 offset:68 ; 4-byte Folded Reload
	buffer_load_dword v1, off, s[60:63], 0 offset:72 ; 4-byte Folded Reload
	s_waitcnt vmcnt(0)
	v_add_f64 v[114:115], v[114:115], -v[0:1]
	buffer_load_dword v0, off, s[60:63], 0 offset:180 ; 4-byte Folded Reload
	buffer_load_dword v1, off, s[60:63], 0 offset:184 ; 4-byte Folded Reload
	v_add_f64 v[114:115], v[36:37], v[114:115]
	s_waitcnt vmcnt(0)
	v_add_f64 v[124:125], v[124:125], -v[0:1]
	buffer_load_dword v0, off, s[60:63], 0 offset:52 ; 4-byte Folded Reload
	buffer_load_dword v1, off, s[60:63], 0 offset:56 ; 4-byte Folded Reload
	v_add_f64 v[114:115], v[124:125], v[114:115]
	v_mul_f64 v[124:125], v[233:234], s[24:25]
	s_waitcnt vmcnt(0)
	v_add_f64 v[116:117], v[0:1], v[116:117]
	buffer_load_dword v0, off, s[60:63], 0 offset:276 ; 4-byte Folded Reload
	buffer_load_dword v1, off, s[60:63], 0 offset:280 ; 4-byte Folded Reload
	v_add_f64 v[116:117], v[38:39], v[116:117]
	s_waitcnt vmcnt(0)
	v_add_f64 v[153:154], v[153:154], -v[0:1]
	buffer_load_dword v0, off, s[60:63], 0 offset:172 ; 4-byte Folded Reload
	buffer_load_dword v1, off, s[60:63], 0 offset:176 ; 4-byte Folded Reload
	v_add_f64 v[114:115], v[153:154], v[114:115]
	v_mul_f64 v[153:154], v[120:121], s[16:17]
	v_add_f64 v[114:115], v[159:160], v[114:115]
	v_mul_f64 v[159:160], v[150:151], s[20:21]
	v_add_f64 v[104:105], v[171:172], v[114:115]
	v_add_f64 v[114:115], v[140:141], v[122:123]
	v_add_f64 v[64:65], v[159:160], -v[163:164]
	v_add_f64 v[54:55], v[94:95], v[104:105]
	v_add_f64 v[94:95], v[185:186], v[205:206]
	s_waitcnt vmcnt(0)
	v_add_f64 v[126:127], v[0:1], v[126:127]
	buffer_load_dword v0, off, s[60:63], 0 offset:268 ; 4-byte Folded Reload
	buffer_load_dword v1, off, s[60:63], 0 offset:272 ; 4-byte Folded Reload
	v_add_f64 v[116:117], v[126:127], v[116:117]
	v_mul_f64 v[126:127], v[233:234], s[18:19]
	s_waitcnt vmcnt(0)
	v_add_f64 v[155:156], v[0:1], v[155:156]
	buffer_load_dword v0, off, s[60:63], 0 offset:364 ; 4-byte Folded Reload
	buffer_load_dword v1, off, s[60:63], 0 offset:368 ; 4-byte Folded Reload
	v_add_f64 v[116:117], v[155:156], v[116:117]
	v_mul_f64 v[155:156], v[120:121], s[8:9]
	v_mul_f64 v[120:121], v[120:121], s[10:11]
	v_add_f64 v[52:53], v[120:121], -v[142:143]
	s_waitcnt vmcnt(0)
	v_add_f64 v[181:182], v[0:1], v[181:182]
	buffer_load_dword v0, off, s[60:63], 0 offset:20 ; 4-byte Folded Reload
	buffer_load_dword v1, off, s[60:63], 0 offset:24 ; 4-byte Folded Reload
	v_add_f64 v[116:117], v[181:182], v[116:117]
	v_mul_f64 v[181:182], v[150:151], s[4:5]
	v_mul_f64 v[150:151], v[150:151], s[16:17]
	v_add_f64 v[100:101], v[201:202], v[116:117]
	v_add_f64 v[100:101], v[110:111], v[100:101]
	v_add_f64 v[110:111], v[150:151], -v[187:188]
	v_add_f64 v[100:101], v[114:115], v[100:101]
	v_add_f64 v[46:47], v[94:95], v[100:101]
	;; [unrolled: 1-line block ×3, first 2 shown]
	s_waitcnt vmcnt(0)
	v_add_f64 v[104:105], v[0:1], v[169:170]
	buffer_load_dword v0, off, s[60:63], 0 offset:4 ; 4-byte Folded Reload
	buffer_load_dword v1, off, s[60:63], 0 offset:8 ; 4-byte Folded Reload
	v_add_f64 v[38:39], v[38:39], v[104:105]
	s_waitcnt vmcnt(0)
	v_add_f64 v[48:49], v[138:139], -v[0:1]
	buffer_load_dword v0, off, s[60:63], 0 offset:36 ; 4-byte Folded Reload
	buffer_load_dword v1, off, s[60:63], 0 offset:40 ; 4-byte Folded Reload
	v_add_f64 v[48:49], v[36:37], v[48:49]
	s_waitcnt vmcnt(0)
	v_add_f64 v[50:51], v[136:137], -v[0:1]
	;; [unrolled: 5-line block ×3, first 2 shown]
	buffer_load_dword v0, off, s[60:63], 0 offset:140 ; 4-byte Folded Reload
	buffer_load_dword v1, off, s[60:63], 0 offset:144 ; 4-byte Folded Reload
	v_add_f64 v[36:37], v[114:115], v[36:37]
	s_waitcnt vmcnt(0)
	v_add_f64 v[116:117], v[0:1], v[167:168]
	buffer_load_dword v0, off, s[60:63], 0 offset:132 ; 4-byte Folded Reload
	buffer_load_dword v1, off, s[60:63], 0 offset:136 ; 4-byte Folded Reload
	v_add_f64 v[38:39], v[116:117], v[38:39]
	s_waitcnt vmcnt(0)
	v_add_f64 v[104:105], v[146:147], -v[0:1]
	buffer_load_dword v0, off, s[60:63], 0 offset:228 ; 4-byte Folded Reload
	buffer_load_dword v1, off, s[60:63], 0 offset:232 ; 4-byte Folded Reload
	v_add_f64 v[48:49], v[104:105], v[48:49]
	s_waitcnt vmcnt(0)
	v_add_f64 v[50:51], v[183:184], -v[0:1]
	buffer_load_dword v0, off, s[60:63], 0 offset:220 ; 4-byte Folded Reload
	buffer_load_dword v1, off, s[60:63], 0 offset:224 ; 4-byte Folded Reload
	v_add_f64 v[36:37], v[50:51], v[36:37]
	s_waitcnt vmcnt(0)
	v_add_f64 v[56:57], v[0:1], v[177:178]
	buffer_load_dword v0, off, s[60:63], 0 offset:212 ; 4-byte Folded Reload
	buffer_load_dword v1, off, s[60:63], 0 offset:216 ; 4-byte Folded Reload
	v_add_f64 v[38:39], v[56:57], v[38:39]
	s_waitcnt vmcnt(0)
	v_add_f64 v[58:59], v[173:174], -v[0:1]
	buffer_load_dword v0, off, s[60:63], 0 offset:324 ; 4-byte Folded Reload
	buffer_load_dword v1, off, s[60:63], 0 offset:328 ; 4-byte Folded Reload
	v_add_f64 v[48:49], v[58:59], v[48:49]
	s_waitcnt vmcnt(0)
	v_add_f64 v[60:61], v[179:180], -v[0:1]
	buffer_load_dword v0, off, s[60:63], 0 offset:308 ; 4-byte Folded Reload
	buffer_load_dword v1, off, s[60:63], 0 offset:312 ; 4-byte Folded Reload
	v_add_f64 v[36:37], v[60:61], v[36:37]
	v_add_f64 v[60:61], v[217:218], v[203:204]
	s_waitcnt vmcnt(0)
	v_add_f64 v[62:63], v[0:1], v[193:194]
	buffer_load_dword v0, off, s[60:63], 0 offset:300 ; 4-byte Folded Reload
	buffer_load_dword v1, off, s[60:63], 0 offset:304 ; 4-byte Folded Reload
	v_add_f64 v[38:39], v[62:63], v[38:39]
	s_waitcnt vmcnt(0)
	v_add_f64 v[56:57], v[191:192], -v[0:1]
	buffer_load_dword v0, off, s[60:63], 0 offset:412 ; 4-byte Folded Reload
	buffer_load_dword v1, off, s[60:63], 0 offset:416 ; 4-byte Folded Reload
	v_add_f64 v[48:49], v[56:57], v[48:49]
	v_add_f64 v[56:57], v[126:127], -v[221:222]
	s_waitcnt vmcnt(0)
	v_add_f64 v[50:51], v[199:200], -v[0:1]
	buffer_load_dword v0, off, s[60:63], 0 offset:396 ; 4-byte Folded Reload
	buffer_load_dword v1, off, s[60:63], 0 offset:400 ; 4-byte Folded Reload
	v_add_f64 v[36:37], v[50:51], v[36:37]
	v_add_f64 v[50:51], v[155:156], -v[134:135]
	v_add_f64 v[36:37], v[56:57], v[36:37]
	v_add_f64 v[56:57], v[181:182], -v[175:176]
	v_add_f64 v[36:37], v[50:51], v[36:37]
	s_waitcnt vmcnt(0)
	v_add_f64 v[58:59], v[0:1], v[197:198]
	buffer_load_dword v0, off, s[60:63], 0 offset:388 ; 4-byte Folded Reload
	buffer_load_dword v1, off, s[60:63], 0 offset:392 ; 4-byte Folded Reload
	v_add_f64 v[38:39], v[58:59], v[38:39]
	v_add_f64 v[58:59], v[124:125], -v[241:242]
	v_add_f64 v[38:39], v[60:61], v[38:39]
	v_add_f64 v[60:61], v[153:154], -v[130:131]
	s_waitcnt vmcnt(0)
	v_add_f64 v[62:63], v[195:196], -v[0:1]
	v_lshlrev_b32_e32 v0, 4, v252
	v_add_f64 v[48:49], v[62:63], v[48:49]
	v_add_f64 v[62:63], v[132:133], v[209:210]
	;; [unrolled: 1-line block ×16, first 2 shown]
	ds_write_b128 v0, v[52:55]
	ds_write_b128 v0, v[48:51] offset:16
	ds_write_b128 v0, v[44:47] offset:32
	;; [unrolled: 1-line block ×16, first 2 shown]
.LBB0_7:
	s_or_b64 exec, exec, s[26:27]
	s_load_dwordx4 s[4:7], s[6:7], 0x0
	s_waitcnt lgkmcnt(0)
	s_barrier
	buffer_load_dword v3, off, s[60:63], 0  ; 4-byte Folded Reload
	s_movk_i32 s8, 0xf1
	s_mov_b32 s10, 0x37e14327
	s_mov_b32 s20, 0xe976ee23
	;; [unrolled: 1-line block ×18, first 2 shown]
	s_movk_i32 s33, 0x60
	s_waitcnt vmcnt(0)
	v_mul_lo_u16_sdwa v0, v3, s8 dst_sel:DWORD dst_unused:UNUSED_PAD src0_sel:BYTE_0 src1_sel:DWORD
	v_lshrrev_b16_e32 v0, 12, v0
	v_mul_lo_u16_e32 v1, 17, v0
	v_sub_u16_e32 v1, v3, v1
	v_and_b32_e32 v1, 0xff, v1
	v_mul_u32_u24_e32 v2, 6, v1
	v_lshlrev_b32_e32 v2, 4, v2
	global_load_dwordx4 v[44:47], v2, s[2:3]
	global_load_dwordx4 v[36:39], v2, s[2:3] offset:16
	global_load_dwordx4 v[52:55], v2, s[2:3] offset:32
	;; [unrolled: 1-line block ×5, first 2 shown]
	ds_read_b128 v[64:67], v255
	ds_read_b128 v[68:71], v255 offset:1904
	ds_read_b128 v[72:75], v255 offset:3808
	;; [unrolled: 1-line block ×6, first 2 shown]
	s_mov_b32 s8, 0x36b3c0b5
	s_mov_b32 s9, 0x3fac98ee
	v_mul_u32_u24_e32 v0, 0x77, v0
	v_add_lshl_u32 v217, v0, v1, 4
	s_waitcnt vmcnt(0) lgkmcnt(0)
	s_barrier
	v_mul_f64 v[92:93], v[70:71], v[46:47]
	v_mul_f64 v[94:95], v[68:69], v[46:47]
	;; [unrolled: 1-line block ×12, first 2 shown]
	v_fma_f64 v[68:69], v[68:69], v[44:45], -v[92:93]
	v_fma_f64 v[70:71], v[70:71], v[44:45], v[94:95]
	v_fma_f64 v[72:73], v[72:73], v[36:37], -v[96:97]
	v_fma_f64 v[74:75], v[74:75], v[36:37], v[98:99]
	v_fma_f64 v[88:89], v[88:89], v[56:57], -v[108:109]
	v_fma_f64 v[90:91], v[90:91], v[56:57], v[110:111]
	v_fma_f64 v[84:85], v[84:85], v[60:61], -v[112:113]
	v_fma_f64 v[86:87], v[86:87], v[60:61], v[114:115]
	v_fma_f64 v[76:77], v[76:77], v[52:53], -v[100:101]
	v_fma_f64 v[78:79], v[78:79], v[52:53], v[102:103]
	v_fma_f64 v[80:81], v[80:81], v[48:49], -v[104:105]
	v_fma_f64 v[82:83], v[82:83], v[48:49], v[106:107]
	v_add_f64 v[92:93], v[68:69], v[88:89]
	v_add_f64 v[94:95], v[70:71], v[90:91]
	v_add_f64 v[68:69], v[68:69], -v[88:89]
	v_add_f64 v[70:71], v[70:71], -v[90:91]
	v_add_f64 v[88:89], v[72:73], v[84:85]
	v_add_f64 v[90:91], v[74:75], v[86:87]
	v_add_f64 v[72:73], v[72:73], -v[84:85]
	v_add_f64 v[74:75], v[74:75], -v[86:87]
	;; [unrolled: 4-line block ×4, first 2 shown]
	v_add_f64 v[92:93], v[92:93], -v[84:85]
	v_add_f64 v[94:95], v[94:95], -v[86:87]
	;; [unrolled: 1-line block ×4, first 2 shown]
	v_add_f64 v[100:101], v[76:77], v[72:73]
	v_add_f64 v[102:103], v[78:79], v[74:75]
	v_add_f64 v[104:105], v[76:77], -v[72:73]
	v_add_f64 v[106:107], v[78:79], -v[74:75]
	v_add_f64 v[80:81], v[84:85], v[80:81]
	v_add_f64 v[82:83], v[86:87], v[82:83]
	v_add_f64 v[72:73], v[72:73], -v[68:69]
	v_add_f64 v[74:75], v[74:75], -v[70:71]
	;; [unrolled: 1-line block ×4, first 2 shown]
	v_add_f64 v[68:69], v[100:101], v[68:69]
	v_add_f64 v[70:71], v[102:103], v[70:71]
	v_mul_f64 v[84:85], v[92:93], s[10:11]
	v_mul_f64 v[86:87], v[94:95], s[10:11]
	;; [unrolled: 1-line block ×6, first 2 shown]
	v_add_f64 v[64:65], v[64:65], v[80:81]
	v_add_f64 v[66:67], v[66:67], v[82:83]
	v_mul_f64 v[104:105], v[72:73], s[16:17]
	v_mul_f64 v[106:107], v[74:75], s[16:17]
	v_fma_f64 v[88:89], v[88:89], s[8:9], v[84:85]
	v_fma_f64 v[90:91], v[90:91], s[8:9], v[86:87]
	v_fma_f64 v[92:93], v[96:97], s[22:23], -v[92:93]
	v_fma_f64 v[94:95], v[98:99], s[22:23], -v[94:95]
	;; [unrolled: 1-line block ×4, first 2 shown]
	v_fma_f64 v[96:97], v[76:77], s[26:27], v[100:101]
	v_fma_f64 v[98:99], v[78:79], s[26:27], v[102:103]
	;; [unrolled: 1-line block ×4, first 2 shown]
	v_fma_f64 v[76:77], v[76:77], s[30:31], -v[104:105]
	v_fma_f64 v[78:79], v[78:79], s[30:31], -v[106:107]
	;; [unrolled: 1-line block ×4, first 2 shown]
	v_fma_f64 v[96:97], v[68:69], s[28:29], v[96:97]
	v_fma_f64 v[98:99], v[70:71], s[28:29], v[98:99]
	v_add_f64 v[88:89], v[88:89], v[80:81]
	v_add_f64 v[90:91], v[90:91], v[82:83]
	v_fma_f64 v[104:105], v[68:69], s[28:29], v[76:77]
	v_fma_f64 v[106:107], v[70:71], s[28:29], v[78:79]
	v_add_f64 v[84:85], v[84:85], v[80:81]
	v_add_f64 v[86:87], v[86:87], v[82:83]
	;; [unrolled: 4-line block ×3, first 2 shown]
	v_add_f64 v[68:69], v[98:99], v[88:89]
	v_add_f64 v[70:71], v[90:91], -v[96:97]
	v_add_f64 v[72:73], v[106:107], v[84:85]
	v_add_f64 v[74:75], v[86:87], -v[104:105]
	v_add_f64 v[84:85], v[84:85], -v[106:107]
	v_add_f64 v[86:87], v[104:105], v[86:87]
	v_add_f64 v[76:77], v[80:81], -v[102:103]
	v_add_f64 v[78:79], v[100:101], v[82:83]
	v_add_f64 v[80:81], v[102:103], v[80:81]
	v_add_f64 v[82:83], v[82:83], -v[100:101]
	v_add_f64 v[88:89], v[88:89], -v[98:99]
	v_add_f64 v[90:91], v[96:97], v[90:91]
	ds_write_b128 v217, v[64:67]
	ds_write_b128 v217, v[68:71] offset:272
	ds_write_b128 v217, v[72:75] offset:544
	;; [unrolled: 1-line block ×6, first 2 shown]
	v_mov_b32_e32 v65, s3
	v_mov_b32_e32 v64, s2
	v_mad_u64_u32 v[88:89], s[2:3], v3, s33, v[64:65]
	s_waitcnt lgkmcnt(0)
	s_barrier
	global_load_dwordx4 v[76:79], v[88:89], off offset:1632
	global_load_dwordx4 v[72:75], v[88:89], off offset:1648
	global_load_dwordx4 v[68:71], v[88:89], off offset:1664
	global_load_dwordx4 v[64:67], v[88:89], off offset:1680
	global_load_dwordx4 v[80:83], v[88:89], off offset:1712
	global_load_dwordx4 v[84:87], v[88:89], off offset:1696
	ds_read_b128 v[88:91], v255
	ds_read_b128 v[92:95], v255 offset:1904
	ds_read_b128 v[96:99], v255 offset:3808
	;; [unrolled: 1-line block ×6, first 2 shown]
	s_waitcnt vmcnt(5) lgkmcnt(5)
	v_mul_f64 v[116:117], v[94:95], v[78:79]
	v_mul_f64 v[118:119], v[92:93], v[78:79]
	s_waitcnt vmcnt(4) lgkmcnt(4)
	v_mul_f64 v[120:121], v[98:99], v[74:75]
	v_mul_f64 v[122:123], v[96:97], v[74:75]
	;; [unrolled: 3-line block ×3, first 2 shown]
	s_waitcnt vmcnt(0)
	v_mul_f64 v[136:137], v[110:111], v[86:87]
	v_mul_f64 v[138:139], v[108:109], v[86:87]
	v_mul_f64 v[124:125], v[102:103], v[70:71]
	v_mul_f64 v[126:127], v[100:101], v[70:71]
	v_mul_f64 v[128:129], v[106:107], v[66:67]
	v_mul_f64 v[130:131], v[104:105], v[66:67]
	v_fma_f64 v[92:93], v[92:93], v[76:77], -v[116:117]
	v_fma_f64 v[94:95], v[94:95], v[76:77], v[118:119]
	v_fma_f64 v[96:97], v[96:97], v[72:73], -v[120:121]
	v_fma_f64 v[98:99], v[98:99], v[72:73], v[122:123]
	;; [unrolled: 2-line block ×6, first 2 shown]
	v_add_f64 v[116:117], v[92:93], v[112:113]
	v_add_f64 v[118:119], v[94:95], v[114:115]
	v_add_f64 v[92:93], v[92:93], -v[112:113]
	v_add_f64 v[94:95], v[94:95], -v[114:115]
	v_add_f64 v[112:113], v[96:97], v[108:109]
	v_add_f64 v[114:115], v[98:99], v[110:111]
	v_add_f64 v[96:97], v[96:97], -v[108:109]
	v_add_f64 v[98:99], v[98:99], -v[110:111]
	;; [unrolled: 4-line block ×4, first 2 shown]
	v_add_f64 v[116:117], v[116:117], -v[108:109]
	v_add_f64 v[118:119], v[118:119], -v[110:111]
	;; [unrolled: 1-line block ×4, first 2 shown]
	v_add_f64 v[124:125], v[100:101], v[96:97]
	v_add_f64 v[126:127], v[102:103], v[98:99]
	v_add_f64 v[128:129], v[100:101], -v[96:97]
	v_add_f64 v[130:131], v[102:103], -v[98:99]
	;; [unrolled: 1-line block ×4, first 2 shown]
	v_add_f64 v[104:105], v[108:109], v[104:105]
	v_add_f64 v[106:107], v[110:111], v[106:107]
	v_add_f64 v[100:101], v[92:93], -v[100:101]
	v_add_f64 v[102:103], v[94:95], -v[102:103]
	v_add_f64 v[92:93], v[124:125], v[92:93]
	v_add_f64 v[94:95], v[126:127], v[94:95]
	v_mul_f64 v[108:109], v[116:117], s[10:11]
	v_mul_f64 v[110:111], v[118:119], s[10:11]
	;; [unrolled: 1-line block ×8, first 2 shown]
	v_add_f64 v[88:89], v[88:89], v[104:105]
	v_add_f64 v[90:91], v[90:91], v[106:107]
	v_fma_f64 v[112:113], v[112:113], s[8:9], v[108:109]
	v_fma_f64 v[114:115], v[114:115], s[8:9], v[110:111]
	v_fma_f64 v[116:117], v[120:121], s[22:23], -v[116:117]
	v_fma_f64 v[118:119], v[122:123], s[22:23], -v[118:119]
	;; [unrolled: 1-line block ×4, first 2 shown]
	v_fma_f64 v[120:121], v[100:101], s[26:27], v[124:125]
	v_fma_f64 v[122:123], v[102:103], s[26:27], v[126:127]
	v_fma_f64 v[96:97], v[96:97], s[16:17], -v[124:125]
	v_fma_f64 v[98:99], v[98:99], s[16:17], -v[126:127]
	;; [unrolled: 1-line block ×4, first 2 shown]
	v_fma_f64 v[104:105], v[104:105], s[18:19], v[88:89]
	v_fma_f64 v[106:107], v[106:107], s[18:19], v[90:91]
	;; [unrolled: 1-line block ×8, first 2 shown]
	v_add_f64 v[112:113], v[112:113], v[104:105]
	v_add_f64 v[114:115], v[114:115], v[106:107]
	;; [unrolled: 1-line block ×7, first 2 shown]
	v_add_f64 v[94:95], v[114:115], -v[120:121]
	v_add_f64 v[96:97], v[130:131], v[108:109]
	v_add_f64 v[98:99], v[110:111], -v[128:129]
	v_add_f64 v[100:101], v[104:105], -v[126:127]
	v_add_f64 v[102:103], v[124:125], v[106:107]
	v_add_f64 v[104:105], v[126:127], v[104:105]
	v_add_f64 v[106:107], v[106:107], -v[124:125]
	v_add_f64 v[108:109], v[108:109], -v[130:131]
	v_add_f64 v[110:111], v[128:129], v[110:111]
	v_add_f64 v[112:113], v[112:113], -v[122:123]
	v_add_f64 v[114:115], v[120:121], v[114:115]
	ds_write_b128 v255, v[88:91]
	ds_write_b128 v255, v[92:95] offset:1904
	ds_write_b128 v255, v[96:99] offset:3808
	;; [unrolled: 1-line block ×6, first 2 shown]
	s_waitcnt lgkmcnt(0)
	s_barrier
	s_and_saveexec_b64 s[8:9], s[0:1]
	s_cbranch_execz .LBB0_9
; %bb.8:
	v_mov_b32_e32 v0, s13
	v_add_co_u32_e32 v1, vcc, s12, v255
	v_addc_co_u32_e32 v0, vcc, 0, v0, vcc
	v_add_co_u32_e32 v148, vcc, 0x3410, v1
	v_addc_co_u32_e32 v149, vcc, 0, v0, vcc
	global_load_dwordx4 v[116:119], v[148:149], off offset:784
	global_load_dwordx4 v[120:123], v[148:149], off offset:1568
	global_load_dwordx4 v[124:127], v[148:149], off offset:2352
	global_load_dwordx4 v[128:131], v[148:149], off offset:3136
	s_movk_i32 s2, 0x4000
	v_add_co_u32_e64 v153, s[2:3], s2, v1
	v_add_co_u32_e32 v144, vcc, 0x3000, v1
	v_addc_co_u32_e64 v154, s[2:3], 0, v0, s[2:3]
	global_load_dwordx4 v[132:135], v[153:154], off offset:1648
	global_load_dwordx4 v[136:139], v[153:154], off offset:2432
	;; [unrolled: 1-line block ×3, first 2 shown]
	v_addc_co_u32_e32 v145, vcc, 0, v0, vcc
	global_load_dwordx4 v[144:147], v[144:145], off offset:1040
	s_nop 0
	global_load_dwordx4 v[148:151], v[148:149], off offset:3920
	s_movk_i32 s2, 0x5000
	v_add_co_u32_e32 v189, vcc, s2, v1
	v_addc_co_u32_e32 v190, vcc, 0, v0, vcc
	global_load_dwordx4 v[153:156], v[153:154], off offset:4000
	s_nop 0
	global_load_dwordx4 v[157:160], v[189:190], off offset:688
	global_load_dwordx4 v[161:164], v[189:190], off offset:1472
	;; [unrolled: 1-line block ×3, first 2 shown]
	s_movk_i32 s2, 0x6000
	ds_read_b128 v[169:172], v255
	ds_read_b128 v[173:176], v255 offset:784
	ds_read_b128 v[177:180], v255 offset:1568
	;; [unrolled: 1-line block ×3, first 2 shown]
	global_load_dwordx4 v[185:188], v[189:190], off offset:3040
	s_nop 0
	global_load_dwordx4 v[189:192], v[189:190], off offset:3824
	v_add_co_u32_e32 v197, vcc, s2, v1
	v_addc_co_u32_e32 v198, vcc, 0, v0, vcc
	global_load_dwordx4 v[193:196], v[197:198], off offset:512
	s_nop 0
	global_load_dwordx4 v[197:200], v[197:198], off offset:1296
	ds_read_b128 v[201:204], v255 offset:3136
	ds_read_b128 v[205:208], v255 offset:3920
	;; [unrolled: 1-line block ×6, first 2 shown]
	s_waitcnt vmcnt(16) lgkmcnt(8)
	v_mul_f64 v[226:227], v[175:176], v[118:119]
	v_mul_f64 v[118:119], v[173:174], v[118:119]
	s_waitcnt vmcnt(15) lgkmcnt(7)
	v_mul_f64 v[228:229], v[179:180], v[122:123]
	v_mul_f64 v[122:123], v[177:178], v[122:123]
	;; [unrolled: 3-line block ×4, first 2 shown]
	v_fma_f64 v[173:174], v[173:174], v[116:117], -v[226:227]
	s_waitcnt vmcnt(12) lgkmcnt(3)
	v_mul_f64 v[234:235], v[211:212], v[134:135]
	v_mul_f64 v[134:135], v[209:210], v[134:135]
	s_waitcnt vmcnt(11) lgkmcnt(2)
	v_mul_f64 v[236:237], v[215:216], v[138:139]
	v_mul_f64 v[138:139], v[213:214], v[138:139]
	;; [unrolled: 3-line block ×3, first 2 shown]
	s_waitcnt vmcnt(9)
	v_mul_f64 v[240:241], v[171:172], v[146:147]
	v_mul_f64 v[146:147], v[169:170], v[146:147]
	s_waitcnt vmcnt(8)
	v_mul_f64 v[242:243], v[207:208], v[150:151]
	v_mul_f64 v[150:151], v[205:206], v[150:151]
	v_fma_f64 v[175:176], v[175:176], v[116:117], v[118:119]
	v_fma_f64 v[116:117], v[177:178], v[120:121], -v[228:229]
	v_fma_f64 v[118:119], v[179:180], v[120:121], v[122:123]
	v_fma_f64 v[120:121], v[181:182], v[124:125], -v[230:231]
	;; [unrolled: 2-line block ×8, first 2 shown]
	v_fma_f64 v[146:147], v[207:208], v[148:149], v[150:151]
	ds_write_b128 v255, v[173:176] offset:784
	ds_write_b128 v255, v[116:119] offset:1568
	ds_write_b128 v255, v[120:123] offset:2352
	ds_write_b128 v255, v[124:127] offset:3136
	ds_write_b128 v255, v[128:131] offset:4704
	ds_write_b128 v255, v[132:135] offset:5488
	ds_write_b128 v255, v[140:143]
	ds_write_b128 v255, v[144:147] offset:3920
	ds_read_b128 v[116:119], v255 offset:7840
	ds_read_b128 v[120:123], v255 offset:8624
	;; [unrolled: 1-line block ×4, first 2 shown]
	ds_write_b128 v255, v[136:139] offset:6272
	s_waitcnt vmcnt(6) lgkmcnt(4)
	v_mul_f64 v[136:137], v[118:119], v[159:160]
	v_mul_f64 v[138:139], v[116:117], v[159:160]
	s_waitcnt vmcnt(5) lgkmcnt(3)
	v_mul_f64 v[140:141], v[122:123], v[163:164]
	v_mul_f64 v[142:143], v[120:121], v[163:164]
	;; [unrolled: 3-line block ×3, first 2 shown]
	v_mul_f64 v[132:133], v[224:225], v[155:156]
	v_mul_f64 v[134:135], v[222:223], v[155:156]
	v_fma_f64 v[116:117], v[116:117], v[157:158], -v[136:137]
	v_fma_f64 v[118:119], v[118:119], v[157:158], v[138:139]
	ds_read_b128 v[136:139], v255 offset:10976
	v_fma_f64 v[120:121], v[120:121], v[161:162], -v[140:141]
	v_fma_f64 v[122:123], v[122:123], v[161:162], v[142:143]
	ds_read_b128 v[140:143], v255 offset:11760
	;; [unrolled: 3-line block ×3, first 2 shown]
	s_waitcnt vmcnt(3) lgkmcnt(4)
	v_mul_f64 v[148:149], v[130:131], v[187:188]
	v_mul_f64 v[150:151], v[128:129], v[187:188]
	v_fma_f64 v[132:133], v[222:223], v[153:154], -v[132:133]
	v_fma_f64 v[134:135], v[224:225], v[153:154], v[134:135]
	s_waitcnt vmcnt(2) lgkmcnt(2)
	v_mul_f64 v[153:154], v[138:139], v[191:192]
	v_mul_f64 v[155:156], v[136:137], v[191:192]
	s_waitcnt vmcnt(1) lgkmcnt(1)
	v_mul_f64 v[157:158], v[142:143], v[195:196]
	v_mul_f64 v[159:160], v[140:141], v[195:196]
	;; [unrolled: 3-line block ×3, first 2 shown]
	v_fma_f64 v[128:129], v[128:129], v[185:186], -v[148:149]
	v_fma_f64 v[130:131], v[130:131], v[185:186], v[150:151]
	v_fma_f64 v[136:137], v[136:137], v[189:190], -v[153:154]
	v_fma_f64 v[138:139], v[138:139], v[189:190], v[155:156]
	;; [unrolled: 2-line block ×4, first 2 shown]
	ds_write_b128 v255, v[132:135] offset:7056
	ds_write_b128 v255, v[116:119] offset:7840
	;; [unrolled: 1-line block ×8, first 2 shown]
.LBB0_9:
	s_or_b64 exec, exec, s[8:9]
	s_waitcnt lgkmcnt(0)
	s_barrier
	s_and_saveexec_b64 s[2:3], s[0:1]
	s_cbranch_execz .LBB0_11
; %bb.10:
	ds_read_b128 v[88:91], v255
	ds_read_b128 v[92:95], v255 offset:784
	ds_read_b128 v[96:99], v255 offset:1568
	;; [unrolled: 1-line block ×16, first 2 shown]
.LBB0_11:
	s_or_b64 exec, exec, s[2:3]
	s_waitcnt lgkmcnt(0)
	s_barrier
	s_and_saveexec_b64 s[2:3], s[0:1]
	s_cbranch_execz .LBB0_13
; %bb.12:
	v_mov_b32_e32 v155, v244
	v_mov_b32_e32 v156, v245
	v_add_f64 v[215:216], v[92:93], -v[155:156]
	s_mov_b32 s20, 0xacd6c6b4
	v_mov_b32_e32 v157, v246
	v_mov_b32_e32 v158, v247
	s_mov_b32 s21, 0xbfc7851a
	v_add_f64 v[213:214], v[96:97], -v[4:5]
	v_add_f64 v[169:170], v[94:95], v[157:158]
	v_mov_b32_e32 v178, v27
	v_mul_f64 v[118:119], v[215:216], s[20:21]
	v_mov_b32_e32 v43, v31
	v_add_f64 v[0:1], v[28:29], -v[32:33]
	v_mov_b32_e32 v177, v26
	v_mov_b32_e32 v176, v25
	v_mov_b32_e32 v175, v24
	v_mov_b32_e32 v42, v30
	v_mov_b32_e32 v41, v29
	v_mov_b32_e32 v40, v28
	v_mov_b32_e32 v29, v23
	v_add_f64 v[2:3], v[20:21], -v[24:25]
	v_mov_b32_e32 v28, v22
	v_mov_b32_e32 v27, v21
	;; [unrolled: 1-line block ×16, first 2 shown]
	s_mov_b32 s40, 0x5d8e7cdc
	s_mov_b32 s16, 0x7faef3
	v_mov_b32_e32 v9, v249
	s_mov_b32 s41, 0x3fd71e95
	s_mov_b32 s17, 0xbfef7484
	v_add_f64 v[179:180], v[100:101], -v[8:9]
	v_mul_f64 v[122:123], v[213:214], s[40:41]
	v_add_f64 v[165:166], v[98:99], v[6:7]
	v_fma_f64 v[124:125], v[169:170], s[16:17], v[118:119]
	s_mov_b32 s26, 0x4363dd80
	s_mov_b32 s22, 0x370991
	v_mov_b32_e32 v10, v250
	v_mov_b32_e32 v11, v251
	s_mov_b32 s27, 0xbfe0d888
	s_mov_b32 s23, 0x3fedd6d0
	v_add_f64 v[153:154], v[30:31], v[34:35]
	v_add_f64 v[30:31], v[104:105], -v[12:13]
	v_mul_f64 v[126:127], v[179:180], s[26:27]
	v_add_f64 v[167:168], v[102:103], v[10:11]
	v_fma_f64 v[128:129], v[165:166], s[22:23], v[122:123]
	v_add_f64 v[124:125], v[90:91], v[124:125]
	s_mov_b32 s48, 0x2a9d6da3
	s_mov_b32 s18, 0x910ea3b9
	;; [unrolled: 1-line block ×4, first 2 shown]
	v_add_f64 v[24:25], v[108:109], -v[16:17]
	v_mul_f64 v[130:131], v[30:31], s[48:49]
	v_add_f64 v[163:164], v[106:107], v[14:15]
	v_fma_f64 v[132:133], v[167:168], s[18:19], v[126:127]
	v_add_f64 v[124:125], v[128:129], v[124:125]
	s_mov_b32 s10, 0x923c349f
	s_mov_b32 s30, 0x6c9a05f6
	s_mov_b32 s24, 0x75d4884
	s_mov_b32 s11, 0xbfeec746
	v_mov_b32_e32 v219, v3
	s_mov_b32 s31, 0xbfe9895b
	s_mov_b32 s25, 0x3fe7a5f6
	v_mul_f64 v[116:117], v[2:3], s[10:11]
	v_mov_b32_e32 v218, v2
	v_add_f64 v[2:3], v[112:113], -v[20:21]
	v_mul_f64 v[128:129], v[24:25], s[30:31]
	v_add_f64 v[161:162], v[110:111], v[18:19]
	v_fma_f64 v[134:135], v[163:164], s[24:25], v[130:131]
	v_add_f64 v[124:125], v[132:133], v[124:125]
	v_add_f64 v[171:172], v[94:95], -v[157:158]
	s_mov_b32 s44, 0x7c9e640b
	s_mov_b32 s28, 0x6ed5f1bb
	v_mov_b32_e32 v190, v35
	s_mov_b32 s45, 0x3feca52d
	s_mov_b32 s29, 0xbfe348c8
	v_mov_b32_e32 v189, v34
	v_mov_b32_e32 v188, v33
	;; [unrolled: 1-line block ×3, first 2 shown]
	v_mul_f64 v[132:133], v[2:3], s[44:45]
	v_add_f64 v[159:160], v[114:115], v[22:23]
	v_fma_f64 v[136:137], v[161:162], s[28:29], v[128:129]
	v_add_f64 v[124:125], v[134:135], v[124:125]
	v_add_f64 v[34:35], v[98:99], -v[6:7]
	v_add_f64 v[185:186], v[92:93], v[155:156]
	v_mul_f64 v[134:135], v[171:172], s[20:21]
	s_mov_b32 s36, 0x2b2883cd
	s_mov_b32 s37, 0x3fdc86fa
	v_fma_f64 v[138:139], v[159:160], s[36:37], v[132:133]
	v_add_f64 v[191:192], v[102:103], -v[10:11]
	v_add_f64 v[124:125], v[136:137], v[124:125]
	v_add_f64 v[183:184], v[96:97], v[4:5]
	v_mul_f64 v[136:137], v[34:35], s[40:41]
	v_fma_f64 v[140:141], v[185:186], s[16:17], -v[134:135]
	v_add_f64 v[195:196], v[106:107], -v[14:15]
	v_add_f64 v[181:182], v[100:101], v[8:9]
	v_add_f64 v[197:198], v[110:111], -v[18:19]
	v_fma_f64 v[118:119], v[169:170], s[16:17], -v[118:119]
	v_add_f64 v[124:125], v[138:139], v[124:125]
	v_mul_f64 v[138:139], v[191:192], s[26:27]
	v_fma_f64 v[144:145], v[183:184], s[22:23], -v[136:137]
	v_add_f64 v[140:141], v[88:89], v[140:141]
	v_add_f64 v[193:194], v[104:105], v[12:13]
	v_mul_f64 v[146:147], v[195:196], s[48:49]
	v_fma_f64 v[134:135], v[185:186], s[16:17], v[134:135]
	v_add_f64 v[211:212], v[114:115], -v[22:23]
	v_fma_f64 v[122:123], v[165:166], s[22:23], -v[122:123]
	v_fma_f64 v[148:149], v[181:182], s[18:19], -v[138:139]
	v_add_f64 v[118:119], v[90:91], v[118:119]
	v_add_f64 v[140:141], v[144:145], v[140:141]
	;; [unrolled: 1-line block ×3, first 2 shown]
	v_mul_f64 v[144:145], v[197:198], s[30:31]
	v_fma_f64 v[150:151], v[193:194], s[24:25], -v[146:147]
	v_fma_f64 v[136:137], v[183:184], s[22:23], v[136:137]
	v_add_f64 v[134:135], v[88:89], v[134:135]
	v_fma_f64 v[126:127], v[167:168], s[18:19], -v[126:127]
	v_add_f64 v[118:119], v[122:123], v[118:119]
	v_add_f64 v[140:141], v[148:149], v[140:141]
	;; [unrolled: 1-line block ×3, first 2 shown]
	v_mul_f64 v[122:123], v[211:212], s[44:45]
	v_fma_f64 v[148:149], v[209:210], s[28:29], -v[144:145]
	v_fma_f64 v[138:139], v[181:182], s[18:19], v[138:139]
	v_add_f64 v[134:135], v[136:137], v[134:135]
	v_add_f64 v[173:174], v[28:29], v[177:178]
	v_add_f64 v[205:206], v[28:29], -v[177:178]
	v_add_f64 v[140:141], v[150:151], v[140:141]
	v_fma_f64 v[130:131], v[163:164], s[24:25], -v[130:131]
	v_add_f64 v[118:119], v[126:127], v[118:119]
	v_fma_f64 v[136:137], v[207:208], s[36:37], -v[122:123]
	v_fma_f64 v[146:147], v[193:194], s[24:25], v[146:147]
	v_add_f64 v[134:135], v[138:139], v[134:135]
	s_mov_b32 s52, 0xeb564b22
	s_mov_b32 s34, 0xc61f0d01
	v_add_f64 v[140:141], v[148:149], v[140:141]
	s_mov_b32 s53, 0x3fefdd0d
	s_mov_b32 s35, 0xbfd183b1
	v_mul_f64 v[120:121], v[0:1], s[52:53]
	v_fma_f64 v[142:143], v[173:174], s[34:35], v[116:117]
	v_add_f64 v[201:202], v[42:43], -v[189:190]
	v_add_f64 v[203:204], v[26:27], v[175:176]
	v_mul_f64 v[126:127], v[205:206], s[10:11]
	v_fma_f64 v[128:129], v[161:162], s[28:29], -v[128:129]
	v_add_f64 v[118:119], v[130:131], v[118:119]
	v_add_f64 v[136:137], v[136:137], v[140:141]
	v_fma_f64 v[140:141], v[209:210], s[28:29], v[144:145]
	v_add_f64 v[134:135], v[146:147], v[134:135]
	s_mov_b32 s8, 0x3259b75e
	s_mov_b32 s9, 0x3fb79ee6
	v_add_f64 v[199:200], v[40:41], v[187:188]
	v_mul_f64 v[130:131], v[201:202], s[52:53]
	v_fma_f64 v[138:139], v[203:204], s[34:35], -v[126:127]
	v_fma_f64 v[132:133], v[159:160], s[36:37], -v[132:133]
	v_add_f64 v[118:119], v[128:129], v[118:119]
	v_fma_f64 v[128:129], v[153:154], s[8:9], v[120:121]
	v_add_f64 v[124:125], v[142:143], v[124:125]
	v_fma_f64 v[122:123], v[207:208], s[36:37], v[122:123]
	v_add_f64 v[134:135], v[140:141], v[134:135]
	v_fma_f64 v[142:143], v[199:200], s[8:9], -v[130:131]
	v_add_f64 v[136:137], v[138:139], v[136:137]
	v_fma_f64 v[138:139], v[173:174], s[34:35], -v[116:117]
	v_add_f64 v[132:133], v[132:133], v[118:119]
	v_mov_b32_e32 v33, v31
	v_add_f64 v[118:119], v[128:129], v[124:125]
	v_fma_f64 v[124:125], v[203:204], s[34:35], v[126:127]
	v_add_f64 v[122:123], v[122:123], v[134:135]
	v_mov_b32_e32 v32, v30
	v_add_f64 v[116:117], v[142:143], v[136:137]
	v_mul_f64 v[142:143], v[171:172], s[26:27]
	v_mov_b32_e32 v31, v25
	v_mov_b32_e32 v30, v24
	;; [unrolled: 1-line block ×4, first 2 shown]
	v_add_f64 v[122:123], v[124:125], v[122:123]
	v_mul_f64 v[124:125], v[215:216], s[26:27]
	v_mov_b32_e32 v2, v218
	v_mov_b32_e32 v3, v219
	v_mul_f64 v[146:147], v[213:214], s[44:45]
	v_mul_f64 v[218:219], v[34:35], s[44:45]
	v_fma_f64 v[220:221], v[185:186], s[18:19], -v[142:143]
	s_mov_b32 s43, 0xbfefdd0d
	s_mov_b32 s42, s52
	v_fma_f64 v[148:149], v[169:170], s[18:19], v[124:125]
	v_mul_f64 v[222:223], v[179:180], s[42:43]
	v_mul_f64 v[226:227], v[191:192], s[42:43]
	v_fma_f64 v[224:225], v[165:166], s[36:37], v[146:147]
	v_fma_f64 v[228:229], v[183:184], s[36:37], -v[218:219]
	v_add_f64 v[220:221], v[88:89], v[220:221]
	v_fma_f64 v[124:125], v[169:170], s[18:19], -v[124:125]
	v_fma_f64 v[142:143], v[185:186], s[18:19], v[142:143]
	v_add_f64 v[148:149], v[90:91], v[148:149]
	s_mov_b32 s57, 0x3fe9895b
	s_mov_b32 s56, s30
	v_mul_f64 v[150:151], v[32:33], s[56:57]
	v_fma_f64 v[232:233], v[167:168], s[8:9], v[222:223]
	v_fma_f64 v[234:235], v[181:182], s[8:9], -v[226:227]
	v_add_f64 v[220:221], v[228:229], v[220:221]
	v_fma_f64 v[146:147], v[165:166], s[36:37], -v[146:147]
	v_add_f64 v[148:149], v[224:225], v[148:149]
	v_mul_f64 v[224:225], v[195:196], s[56:57]
	v_add_f64 v[124:125], v[90:91], v[124:125]
	v_fma_f64 v[218:219], v[183:184], s[36:37], v[218:219]
	v_add_f64 v[142:143], v[88:89], v[142:143]
	s_mov_b32 s39, 0xbfd71e95
	s_mov_b32 s38, s40
	v_mul_f64 v[134:135], v[30:31], s[38:39]
	v_fma_f64 v[230:231], v[163:164], s[28:29], v[150:151]
	v_add_f64 v[148:149], v[232:233], v[148:149]
	v_mul_f64 v[228:229], v[197:198], s[38:39]
	v_fma_f64 v[232:233], v[193:194], s[28:29], -v[224:225]
	v_add_f64 v[220:221], v[234:235], v[220:221]
	v_fma_f64 v[222:223], v[167:168], s[8:9], -v[222:223]
	v_add_f64 v[124:125], v[146:147], v[124:125]
	v_fma_f64 v[146:147], v[181:182], s[8:9], v[226:227]
	v_add_f64 v[142:143], v[218:219], v[142:143]
	v_add_f64 v[126:127], v[138:139], v[132:133]
	v_mul_f64 v[132:133], v[24:25], s[20:21]
	v_fma_f64 v[144:145], v[161:162], s[22:23], v[134:135]
	v_add_f64 v[148:149], v[230:231], v[148:149]
	v_mul_f64 v[218:219], v[211:212], s[20:21]
	v_fma_f64 v[226:227], v[209:210], s[22:23], -v[228:229]
	v_add_f64 v[220:221], v[232:233], v[220:221]
	v_fma_f64 v[150:151], v[163:164], s[28:29], -v[150:151]
	v_add_f64 v[124:125], v[222:223], v[124:125]
	v_fma_f64 v[222:223], v[193:194], s[28:29], v[224:225]
	v_add_f64 v[142:143], v[146:147], v[142:143]
	v_mul_f64 v[128:129], v[2:3], s[48:49]
	v_fma_f64 v[140:141], v[159:160], s[16:17], v[132:133]
	v_add_f64 v[144:145], v[144:145], v[148:149]
	v_mul_f64 v[146:147], v[205:206], s[48:49]
	v_fma_f64 v[148:149], v[207:208], s[16:17], -v[218:219]
	v_add_f64 v[220:221], v[226:227], v[220:221]
	v_fma_f64 v[134:135], v[161:162], s[22:23], -v[134:135]
	v_add_f64 v[124:125], v[150:151], v[124:125]
	v_fma_f64 v[150:151], v[209:210], s[22:23], v[228:229]
	v_add_f64 v[142:143], v[222:223], v[142:143]
	v_fma_f64 v[120:121], v[153:154], s[8:9], -v[120:121]
	v_fma_f64 v[130:131], v[199:200], s[8:9], v[130:131]
	v_fma_f64 v[138:139], v[173:174], s[24:25], v[128:129]
	v_add_f64 v[140:141], v[140:141], v[144:145]
	v_mul_f64 v[144:145], v[201:202], s[10:11]
	v_fma_f64 v[222:223], v[203:204], s[24:25], -v[146:147]
	v_add_f64 v[148:149], v[148:149], v[220:221]
	v_add_f64 v[124:125], v[134:135], v[124:125]
	v_fma_f64 v[134:135], v[207:208], s[16:17], v[218:219]
	v_add_f64 v[142:143], v[150:151], v[142:143]
	buffer_store_dword v116, off, s[60:63], 0 offset:4 ; 4-byte Folded Spill
	s_nop 0
	buffer_store_dword v117, off, s[60:63], 0 offset:8 ; 4-byte Folded Spill
	buffer_store_dword v118, off, s[60:63], 0 offset:12 ; 4-byte Folded Spill
	;; [unrolled: 1-line block ×3, first 2 shown]
	v_add_f64 v[118:119], v[120:121], v[126:127]
	v_add_f64 v[116:117], v[130:131], v[122:123]
	v_mul_f64 v[136:137], v[0:1], s[10:11]
	v_add_f64 v[138:139], v[138:139], v[140:141]
	v_fma_f64 v[140:141], v[199:200], s[34:35], -v[144:145]
	v_add_f64 v[148:149], v[222:223], v[148:149]
	v_fma_f64 v[146:147], v[203:204], s[24:25], v[146:147]
	v_add_f64 v[134:135], v[134:135], v[142:143]
	buffer_store_dword v116, off, s[60:63], 0 offset:36 ; 4-byte Folded Spill
	s_nop 0
	buffer_store_dword v117, off, s[60:63], 0 offset:40 ; 4-byte Folded Spill
	buffer_store_dword v118, off, s[60:63], 0 offset:44 ; 4-byte Folded Spill
	;; [unrolled: 1-line block ×3, first 2 shown]
	v_fma_f64 v[150:151], v[153:154], s[34:35], v[136:137]
	v_fma_f64 v[130:131], v[153:154], s[34:35], -v[136:137]
	s_mov_b32 s55, 0x3feec746
	v_add_f64 v[116:117], v[140:141], v[148:149]
	v_mul_f64 v[140:141], v[215:216], s[30:31]
	v_add_f64 v[136:137], v[146:147], v[134:135]
	v_mul_f64 v[146:147], v[171:172], s[30:31]
	s_mov_b32 s54, s10
	v_mul_f64 v[148:149], v[213:214], s[54:55]
	v_mul_f64 v[222:223], v[34:35], s[54:55]
	v_fma_f64 v[132:133], v[159:160], s[16:17], -v[132:133]
	v_mul_f64 v[228:229], v[179:180], s[38:39]
	v_fma_f64 v[218:219], v[169:170], s[28:29], v[140:141]
	v_fma_f64 v[140:141], v[169:170], s[28:29], -v[140:141]
	v_fma_f64 v[224:225], v[185:186], s[28:29], -v[146:147]
	v_mul_f64 v[232:233], v[191:192], s[38:39]
	v_fma_f64 v[230:231], v[165:166], s[34:35], v[148:149]
	v_fma_f64 v[234:235], v[183:184], s[34:35], -v[222:223]
	v_fma_f64 v[148:149], v[165:166], s[34:35], -v[148:149]
	;; [unrolled: 1-line block ×3, first 2 shown]
	v_add_f64 v[218:219], v[90:91], v[218:219]
	v_add_f64 v[140:141], v[90:91], v[140:141]
	;; [unrolled: 1-line block ×4, first 2 shown]
	v_mul_f64 v[236:237], v[32:33], s[26:27]
	v_fma_f64 v[238:239], v[167:168], s[22:23], v[228:229]
	v_fma_f64 v[240:241], v[181:182], s[22:23], -v[232:233]
	v_fma_f64 v[228:229], v[167:168], s[22:23], -v[228:229]
	v_add_f64 v[218:219], v[230:231], v[218:219]
	v_mul_f64 v[230:231], v[195:196], s[26:27]
	v_add_f64 v[224:225], v[234:235], v[224:225]
	v_fma_f64 v[146:147], v[185:186], s[28:29], v[146:147]
	v_add_f64 v[140:141], v[148:149], v[140:141]
	v_add_f64 v[128:129], v[128:129], v[132:133]
	v_fma_f64 v[132:133], v[199:200], s[34:35], v[144:145]
	v_mul_f64 v[144:145], v[30:31], s[52:53]
	v_fma_f64 v[234:235], v[163:164], s[18:19], v[236:237]
	v_add_f64 v[148:149], v[238:239], v[218:219]
	v_mul_f64 v[218:219], v[197:198], s[52:53]
	v_fma_f64 v[238:239], v[193:194], s[18:19], -v[230:231]
	v_add_f64 v[224:225], v[240:241], v[224:225]
	v_fma_f64 v[236:237], v[163:164], s[18:19], -v[236:237]
	v_fma_f64 v[222:223], v[183:184], s[34:35], v[222:223]
	v_add_f64 v[146:147], v[88:89], v[146:147]
	v_add_f64 v[140:141], v[228:229], v[140:141]
	s_mov_b32 s47, 0xbfe58eea
	s_mov_b32 s46, s48
	v_mul_f64 v[142:143], v[24:25], s[46:47]
	v_fma_f64 v[226:227], v[161:162], s[8:9], v[144:145]
	v_add_f64 v[148:149], v[234:235], v[148:149]
	v_mul_f64 v[228:229], v[211:212], s[46:47]
	v_fma_f64 v[234:235], v[209:210], s[8:9], -v[218:219]
	v_add_f64 v[224:225], v[238:239], v[224:225]
	v_fma_f64 v[144:145], v[161:162], s[8:9], -v[144:145]
	v_fma_f64 v[232:233], v[181:182], s[22:23], v[232:233]
	v_add_f64 v[146:147], v[222:223], v[146:147]
	v_add_f64 v[140:141], v[236:237], v[140:141]
	;; [unrolled: 1-line block ×3, first 2 shown]
	v_mul_f64 v[138:139], v[2:3], s[20:21]
	v_fma_f64 v[220:221], v[159:160], s[24:25], v[142:143]
	v_add_f64 v[148:149], v[226:227], v[148:149]
	v_mul_f64 v[222:223], v[205:206], s[20:21]
	v_fma_f64 v[226:227], v[207:208], s[24:25], -v[228:229]
	v_add_f64 v[224:225], v[234:235], v[224:225]
	v_fma_f64 v[142:143], v[159:160], s[24:25], -v[142:143]
	v_fma_f64 v[230:231], v[193:194], s[18:19], v[230:231]
	v_add_f64 v[146:147], v[232:233], v[146:147]
	v_add_f64 v[140:141], v[144:145], v[140:141]
	v_mul_f64 v[134:135], v[0:1], s[44:45]
	v_fma_f64 v[150:151], v[173:174], s[16:17], v[138:139]
	v_add_f64 v[144:145], v[220:221], v[148:149]
	v_mul_f64 v[148:149], v[201:202], s[44:45]
	v_fma_f64 v[220:221], v[203:204], s[16:17], -v[222:223]
	v_add_f64 v[224:225], v[226:227], v[224:225]
	v_fma_f64 v[138:139], v[173:174], s[16:17], -v[138:139]
	v_fma_f64 v[218:219], v[209:210], s[8:9], v[218:219]
	v_add_f64 v[146:147], v[230:231], v[146:147]
	v_add_f64 v[140:141], v[142:143], v[140:141]
	buffer_store_dword v116, off, s[60:63], 0 offset:20 ; 4-byte Folded Spill
	s_nop 0
	buffer_store_dword v117, off, s[60:63], 0 offset:24 ; 4-byte Folded Spill
	buffer_store_dword v118, off, s[60:63], 0 offset:28 ; 4-byte Folded Spill
	;; [unrolled: 1-line block ×3, first 2 shown]
	v_mov_b32_e32 v119, v1
	v_mov_b32_e32 v117, v3
	;; [unrolled: 1-line block ×4, first 2 shown]
	v_add_f64 v[2:3], v[130:131], v[128:129]
	v_add_f64 v[0:1], v[132:133], v[136:137]
	v_fma_f64 v[142:143], v[153:154], s[36:37], v[134:135]
	v_add_f64 v[144:145], v[150:151], v[144:145]
	v_fma_f64 v[150:151], v[199:200], s[36:37], -v[148:149]
	v_add_f64 v[220:221], v[220:221], v[224:225]
	v_fma_f64 v[226:227], v[207:208], s[24:25], v[228:229]
	v_add_f64 v[146:147], v[218:219], v[146:147]
	v_add_f64 v[138:139], v[138:139], v[140:141]
	v_mul_f64 v[140:141], v[215:216], s[10:11]
	buffer_store_dword v0, off, s[60:63], 0 offset:68 ; 4-byte Folded Spill
	s_nop 0
	buffer_store_dword v1, off, s[60:63], 0 offset:72 ; 4-byte Folded Spill
	buffer_store_dword v2, off, s[60:63], 0 offset:76 ; 4-byte Folded Spill
	;; [unrolled: 1-line block ×3, first 2 shown]
	v_add_f64 v[2:3], v[142:143], v[144:145]
	s_mov_b32 s59, 0x3fe0d888
	v_add_f64 v[0:1], v[150:151], v[220:221]
	s_mov_b32 s58, s26
	v_fma_f64 v[224:225], v[153:154], s[36:37], -v[134:135]
	v_fma_f64 v[136:137], v[203:204], s[16:17], v[222:223]
	v_add_f64 v[142:143], v[226:227], v[146:147]
	v_mul_f64 v[144:145], v[213:214], s[58:59]
	v_fma_f64 v[146:147], v[199:200], s[36:37], v[148:149]
	v_mul_f64 v[148:149], v[171:172], s[10:11]
	v_fma_f64 v[150:151], v[169:170], s[34:35], v[140:141]
	buffer_store_dword v0, off, s[60:63], 0 offset:52 ; 4-byte Folded Spill
	s_nop 0
	buffer_store_dword v1, off, s[60:63], 0 offset:56 ; 4-byte Folded Spill
	buffer_store_dword v2, off, s[60:63], 0 offset:60 ; 4-byte Folded Spill
	;; [unrolled: 1-line block ×3, first 2 shown]
	v_add_f64 v[2:3], v[224:225], v[138:139]
	v_mul_f64 v[224:225], v[34:35], s[58:59]
	v_add_f64 v[136:137], v[136:137], v[142:143]
	v_mul_f64 v[142:143], v[179:180], s[48:49]
	v_fma_f64 v[222:223], v[165:166], s[18:19], v[144:145]
	v_fma_f64 v[226:227], v[185:186], s[34:35], -v[148:149]
	v_add_f64 v[150:151], v[90:91], v[150:151]
	s_mov_b32 s51, 0xbfeca52d
	s_mov_b32 s50, s44
	v_mul_f64 v[228:229], v[32:33], s[50:51]
	v_mul_f64 v[232:233], v[191:192], s[48:49]
	v_fma_f64 v[230:231], v[167:168], s[24:25], v[142:143]
	v_fma_f64 v[234:235], v[183:184], s[18:19], -v[224:225]
	v_add_f64 v[226:227], v[88:89], v[226:227]
	v_add_f64 v[150:151], v[222:223], v[150:151]
	v_fma_f64 v[140:141], v[169:170], s[34:35], -v[140:141]
	v_mul_f64 v[236:237], v[30:31], s[20:21]
	v_fma_f64 v[238:239], v[163:164], s[36:37], v[228:229]
	v_mul_f64 v[240:241], v[195:196], s[50:51]
	v_fma_f64 v[242:243], v[181:182], s[24:25], -v[232:233]
	v_fma_f64 v[144:145], v[165:166], s[18:19], -v[144:145]
	v_add_f64 v[226:227], v[234:235], v[226:227]
	v_add_f64 v[150:151], v[230:231], v[150:151]
	;; [unrolled: 1-line block ×3, first 2 shown]
	v_mul_f64 v[230:231], v[24:25], s[52:53]
	v_fma_f64 v[234:235], v[161:162], s[16:17], v[236:237]
	v_mul_f64 v[244:245], v[197:198], s[20:21]
	v_fma_f64 v[246:247], v[193:194], s[36:37], -v[240:241]
	v_fma_f64 v[142:143], v[167:168], s[24:25], -v[142:143]
	v_add_f64 v[226:227], v[242:243], v[226:227]
	v_add_f64 v[150:151], v[238:239], v[150:151]
	v_fma_f64 v[148:149], v[185:186], s[34:35], v[148:149]
	v_add_f64 v[140:141], v[144:145], v[140:141]
	v_mul_f64 v[220:221], v[116:117], s[38:39]
	v_fma_f64 v[238:239], v[159:160], s[8:9], v[230:231]
	v_mul_f64 v[242:243], v[211:212], s[52:53]
	v_fma_f64 v[248:249], v[209:210], s[16:17], -v[244:245]
	v_add_f64 v[144:145], v[246:247], v[226:227]
	v_add_f64 v[150:151], v[234:235], v[150:151]
	v_fma_f64 v[228:229], v[163:164], s[36:37], -v[228:229]
	v_fma_f64 v[224:225], v[183:184], s[18:19], v[224:225]
	v_add_f64 v[148:149], v[88:89], v[148:149]
	v_add_f64 v[140:141], v[142:143], v[140:141]
	v_mul_f64 v[218:219], v[118:119], s[30:31]
	v_fma_f64 v[222:223], v[173:174], s[22:23], v[220:221]
	v_mul_f64 v[226:227], v[205:206], s[38:39]
	v_fma_f64 v[234:235], v[207:208], s[8:9], -v[242:243]
	v_add_f64 v[142:143], v[248:249], v[144:145]
	v_add_f64 v[144:145], v[238:239], v[150:151]
	v_fma_f64 v[236:237], v[161:162], s[16:17], -v[236:237]
	v_fma_f64 v[232:233], v[181:182], s[24:25], v[232:233]
	v_add_f64 v[148:149], v[224:225], v[148:149]
	v_add_f64 v[140:141], v[228:229], v[140:141]
	v_mul_f64 v[150:151], v[201:202], s[30:31]
	v_fma_f64 v[238:239], v[203:204], s[22:23], -v[226:227]
	v_add_f64 v[142:143], v[234:235], v[142:143]
	v_fma_f64 v[224:225], v[153:154], s[28:29], v[218:219]
	v_add_f64 v[144:145], v[222:223], v[144:145]
	v_fma_f64 v[228:229], v[159:160], s[8:9], -v[230:231]
	v_fma_f64 v[230:231], v[193:194], s[36:37], v[240:241]
	v_add_f64 v[148:149], v[232:233], v[148:149]
	v_add_f64 v[140:141], v[236:237], v[140:141]
	v_fma_f64 v[222:223], v[199:200], s[28:29], -v[150:151]
	v_add_f64 v[232:233], v[238:239], v[142:143]
	v_add_f64 v[0:1], v[146:147], v[136:137]
	;; [unrolled: 1-line block ×3, first 2 shown]
	v_fma_f64 v[144:145], v[173:174], s[22:23], -v[220:221]
	v_fma_f64 v[146:147], v[209:210], s[16:17], v[244:245]
	v_mul_f64 v[220:221], v[215:216], s[42:43]
	v_add_f64 v[148:149], v[230:231], v[148:149]
	v_add_f64 v[224:225], v[228:229], v[140:141]
	v_mul_f64 v[228:229], v[171:172], s[42:43]
	v_add_f64 v[140:141], v[222:223], v[232:233]
	v_mul_f64 v[230:231], v[213:214], s[20:21]
	v_fma_f64 v[222:223], v[207:208], s[8:9], v[242:243]
	v_mul_f64 v[238:239], v[191:192], s[54:55]
	v_fma_f64 v[232:233], v[169:170], s[8:9], v[220:221]
	v_add_f64 v[146:147], v[146:147], v[148:149]
	v_fma_f64 v[148:149], v[203:204], s[22:23], v[226:227]
	v_mul_f64 v[226:227], v[34:35], s[20:21]
	v_fma_f64 v[234:235], v[185:186], s[8:9], -v[228:229]
	v_add_f64 v[144:145], v[144:145], v[224:225]
	v_mul_f64 v[224:225], v[179:180], s[54:55]
	v_fma_f64 v[236:237], v[165:166], s[16:17], v[230:231]
	v_add_f64 v[232:233], v[90:91], v[232:233]
	v_mov_b32_e32 v139, v33
	v_mov_b32_e32 v138, v32
	v_fma_f64 v[240:241], v[183:184], s[16:17], -v[226:227]
	v_add_f64 v[234:235], v[88:89], v[234:235]
	v_add_f64 v[146:147], v[222:223], v[146:147]
	v_fma_f64 v[222:223], v[199:200], s[28:29], v[150:151]
	v_mul_f64 v[150:151], v[138:139], s[40:41]
	v_fma_f64 v[242:243], v[167:168], s[34:35], v[224:225]
	v_add_f64 v[232:233], v[236:237], v[232:233]
	v_fma_f64 v[220:221], v[169:170], s[8:9], -v[220:221]
	v_mul_f64 v[236:237], v[195:196], s[40:41]
	v_fma_f64 v[244:245], v[181:182], s[34:35], -v[238:239]
	v_add_f64 v[234:235], v[240:241], v[234:235]
	v_add_f64 v[146:147], v[148:149], v[146:147]
	v_mul_f64 v[148:149], v[30:31], s[50:51]
	v_fma_f64 v[240:241], v[163:164], s[22:23], v[150:151]
	v_add_f64 v[232:233], v[242:243], v[232:233]
	v_fma_f64 v[230:231], v[165:166], s[16:17], -v[230:231]
	v_add_f64 v[220:221], v[90:91], v[220:221]
	v_mul_f64 v[246:247], v[197:198], s[50:51]
	v_fma_f64 v[248:249], v[193:194], s[22:23], -v[236:237]
	v_add_f64 v[234:235], v[244:245], v[234:235]
	v_mul_f64 v[242:243], v[24:25], s[26:27]
	v_fma_f64 v[244:245], v[161:162], s[36:37], v[148:149]
	v_add_f64 v[232:233], v[240:241], v[232:233]
	v_fma_f64 v[224:225], v[167:168], s[34:35], -v[224:225]
	v_add_f64 v[220:221], v[230:231], v[220:221]
	v_mul_f64 v[230:231], v[211:212], s[26:27]
	v_fma_f64 v[250:251], v[209:210], s[36:37], -v[246:247]
	v_add_f64 v[234:235], v[248:249], v[234:235]
	v_mov_b32_e32 v254, v252
	v_mul_f64 v[240:241], v[116:117], s[56:57]
	v_fma_f64 v[248:249], v[159:160], s[18:19], v[242:243]
	v_add_f64 v[232:233], v[244:245], v[232:233]
	v_fma_f64 v[150:151], v[163:164], s[22:23], -v[150:151]
	v_add_f64 v[220:221], v[224:225], v[220:221]
	v_mul_f64 v[224:225], v[205:206], s[56:57]
	v_fma_f64 v[252:253], v[207:208], s[18:19], -v[230:231]
	v_add_f64 v[234:235], v[250:251], v[234:235]
	v_fma_f64 v[228:229], v[185:186], s[8:9], v[228:229]
	v_fma_f64 v[218:219], v[153:154], s[28:29], -v[218:219]
	v_mul_f64 v[244:245], v[118:119], s[48:49]
	v_fma_f64 v[250:251], v[173:174], s[28:29], v[240:241]
	v_add_f64 v[232:233], v[248:249], v[232:233]
	v_fma_f64 v[148:149], v[161:162], s[36:37], -v[148:149]
	v_add_f64 v[150:151], v[150:151], v[220:221]
	v_mul_f64 v[220:221], v[201:202], s[48:49]
	v_fma_f64 v[248:249], v[203:204], s[28:29], -v[224:225]
	v_add_f64 v[234:235], v[252:253], v[234:235]
	v_fma_f64 v[226:227], v[183:184], s[16:17], v[226:227]
	v_add_f64 v[228:229], v[88:89], v[228:229]
	v_fma_f64 v[252:253], v[153:154], s[24:25], v[244:245]
	v_fma_f64 v[242:243], v[159:160], s[18:19], -v[242:243]
	v_add_f64 v[148:149], v[148:149], v[150:151]
	v_add_f64 v[232:233], v[250:251], v[232:233]
	v_fma_f64 v[250:251], v[199:200], s[24:25], -v[220:221]
	v_add_f64 v[234:235], v[248:249], v[234:235]
	v_add_f64 v[150:151], v[218:219], v[144:145]
	v_fma_f64 v[218:219], v[181:182], s[34:35], v[238:239]
	v_add_f64 v[226:227], v[226:227], v[228:229]
	v_fma_f64 v[228:229], v[173:174], s[28:29], -v[240:241]
	v_add_f64 v[238:239], v[242:243], v[148:149]
	v_add_f64 v[148:149], v[222:223], v[146:147]
	;; [unrolled: 1-line block ×4, first 2 shown]
	v_fma_f64 v[222:223], v[193:194], s[22:23], v[236:237]
	v_mul_f64 v[232:233], v[215:216], s[50:51]
	v_add_f64 v[218:219], v[218:219], v[226:227]
	v_mul_f64 v[234:235], v[171:172], s[50:51]
	v_add_f64 v[228:229], v[228:229], v[238:239]
	v_fma_f64 v[236:237], v[209:210], s[36:37], v[246:247]
	v_mul_f64 v[238:239], v[213:214], s[30:31]
	v_mul_f64 v[242:243], v[34:35], s[30:31]
	s_mov_b32 s53, 0x3fc7851a
	v_fma_f64 v[240:241], v[169:170], s[36:37], v[232:233]
	v_add_f64 v[218:219], v[222:223], v[218:219]
	v_fma_f64 v[222:223], v[185:186], s[36:37], -v[234:235]
	s_mov_b32 s52, s20
	v_fma_f64 v[226:227], v[153:154], s[24:25], -v[244:245]
	v_fma_f64 v[230:231], v[207:208], s[18:19], v[230:231]
	v_mul_f64 v[244:245], v[179:180], s[52:53]
	v_fma_f64 v[246:247], v[165:166], s[28:29], v[238:239]
	v_add_f64 v[240:241], v[90:91], v[240:241]
	v_add_f64 v[218:219], v[236:237], v[218:219]
	v_mul_f64 v[236:237], v[191:192], s[52:53]
	v_fma_f64 v[248:249], v[183:184], s[28:29], -v[242:243]
	v_add_f64 v[222:223], v[88:89], v[222:223]
	v_mul_f64 v[250:251], v[138:139], s[54:55]
	v_fma_f64 v[252:253], v[167:168], s[16:17], v[244:245]
	v_fma_f64 v[232:233], v[169:170], s[36:37], -v[232:233]
	v_add_f64 v[240:241], v[246:247], v[240:241]
	v_add_f64 v[218:219], v[230:231], v[218:219]
	v_mul_f64 v[230:231], v[195:196], s[54:55]
	v_fma_f64 v[246:247], v[181:182], s[16:17], -v[236:237]
	v_add_f64 v[222:223], v[248:249], v[222:223]
	v_mov_b32_e32 v33, v31
	buffer_store_dword v0, off, s[60:63], 0 offset:84 ; 4-byte Folded Spill
	s_nop 0
	buffer_store_dword v1, off, s[60:63], 0 offset:88 ; 4-byte Folded Spill
	buffer_store_dword v2, off, s[60:63], 0 offset:92 ; 4-byte Folded Spill
	;; [unrolled: 1-line block ×3, first 2 shown]
	v_mov_b32_e32 v32, v30
	v_mul_f64 v[248:249], v[32:33], s[48:49]
	v_fma_f64 v[0:1], v[163:164], s[34:35], v[250:251]
	v_add_f64 v[2:3], v[252:253], v[240:241]
	v_mul_f64 v[240:241], v[197:198], s[48:49]
	v_fma_f64 v[252:253], v[193:194], s[34:35], -v[230:231]
	v_fma_f64 v[238:239], v[165:166], s[28:29], -v[238:239]
	v_add_f64 v[232:233], v[90:91], v[232:233]
	v_add_f64 v[222:223], v[246:247], v[222:223]
	v_mov_b32_e32 v131, v87
	v_mov_b32_e32 v130, v86
	;; [unrolled: 1-line block ×5, first 2 shown]
	v_mul_f64 v[246:247], v[24:25], s[38:39]
	v_mov_b32_e32 v86, v6
	v_mov_b32_e32 v85, v5
	;; [unrolled: 1-line block ×3, first 2 shown]
	v_fma_f64 v[4:5], v[161:162], s[24:25], v[248:249]
	v_add_f64 v[0:1], v[0:1], v[2:3]
	v_mul_f64 v[2:3], v[211:212], s[38:39]
	v_fma_f64 v[6:7], v[209:210], s[24:25], -v[240:241]
	v_fma_f64 v[244:245], v[167:168], s[16:17], -v[244:245]
	v_add_f64 v[232:233], v[238:239], v[232:233]
	v_add_f64 v[222:223], v[252:253], v[222:223]
	v_mov_b32_e32 v135, v39
	v_mov_b32_e32 v134, v38
	v_mov_b32_e32 v133, v37
	v_mov_b32_e32 v132, v36
	v_mov_b32_e32 v36, v116
	v_mov_b32_e32 v127, v47
	v_mov_b32_e32 v37, v117
	v_mov_b32_e32 v126, v46
	v_mov_b32_e32 v125, v45
	v_mov_b32_e32 v124, v44
	v_mov_b32_e32 v47, v11
	v_fma_f64 v[224:225], v[203:204], s[28:29], v[224:225]
	v_mul_f64 v[238:239], v[36:37], s[42:43]
	v_fma_f64 v[252:253], v[159:160], s[22:23], v[246:247]
	v_add_f64 v[0:1], v[4:5], v[0:1]
	v_mul_f64 v[4:5], v[205:206], s[42:43]
	v_mov_b32_e32 v46, v10
	v_mov_b32_e32 v45, v9
	;; [unrolled: 1-line block ×3, first 2 shown]
	v_fma_f64 v[8:9], v[207:208], s[22:23], -v[2:3]
	v_fma_f64 v[10:11], v[163:164], s[34:35], -v[250:251]
	v_add_f64 v[232:233], v[244:245], v[232:233]
	v_add_f64 v[6:7], v[6:7], v[222:223]
	v_mov_b32_e32 v38, v118
	v_mov_b32_e32 v39, v119
	v_mul_f64 v[244:245], v[38:39], s[26:27]
	v_fma_f64 v[222:223], v[173:174], s[8:9], v[238:239]
	v_add_f64 v[0:1], v[252:253], v[0:1]
	v_mul_f64 v[250:251], v[201:202], s[26:27]
	v_fma_f64 v[252:253], v[203:204], s[8:9], -v[4:5]
	v_fma_f64 v[248:249], v[161:162], s[24:25], -v[248:249]
	v_add_f64 v[10:11], v[10:11], v[232:233]
	v_add_f64 v[6:7], v[8:9], v[6:7]
	v_fma_f64 v[8:9], v[199:200], s[24:25], v[220:221]
	v_add_f64 v[218:219], v[224:225], v[218:219]
	v_fma_f64 v[224:225], v[153:154], s[18:19], v[244:245]
	v_add_f64 v[0:1], v[222:223], v[0:1]
	v_fma_f64 v[222:223], v[199:200], s[18:19], -v[250:251]
	v_fma_f64 v[232:233], v[159:160], s[22:23], -v[246:247]
	v_add_f64 v[10:11], v[248:249], v[10:11]
	v_add_f64 v[6:7], v[252:253], v[6:7]
	;; [unrolled: 1-line block ×4, first 2 shown]
	v_fma_f64 v[8:9], v[185:186], s[36:37], v[234:235]
	v_mul_f64 v[226:227], v[215:216], s[46:47]
	v_add_f64 v[224:225], v[224:225], v[0:1]
	v_fma_f64 v[0:1], v[173:174], s[8:9], -v[238:239]
	v_add_f64 v[10:11], v[232:233], v[10:11]
	v_add_f64 v[222:223], v[222:223], v[6:7]
	v_fma_f64 v[6:7], v[183:184], s[28:29], v[242:243]
	v_mul_f64 v[232:233], v[171:172], s[46:47]
	v_add_f64 v[8:9], v[88:89], v[8:9]
	v_mul_f64 v[234:235], v[213:214], s[42:43]
	v_fma_f64 v[238:239], v[169:170], s[24:25], v[226:227]
	v_fma_f64 v[228:229], v[153:154], s[18:19], -v[244:245]
	v_add_f64 v[0:1], v[0:1], v[10:11]
	v_fma_f64 v[10:11], v[181:182], s[16:17], v[236:237]
	v_mul_f64 v[236:237], v[34:35], s[42:43]
	v_fma_f64 v[242:243], v[185:186], s[24:25], -v[232:233]
	v_add_f64 v[6:7], v[6:7], v[8:9]
	v_mul_f64 v[8:9], v[179:180], s[30:31]
	v_fma_f64 v[244:245], v[165:166], s[8:9], v[234:235]
	v_add_f64 v[238:239], v[90:91], v[238:239]
	v_fma_f64 v[230:231], v[193:194], s[34:35], v[230:231]
	v_mul_f64 v[246:247], v[191:192], s[30:31]
	v_fma_f64 v[248:249], v[183:184], s[8:9], -v[236:237]
	v_add_f64 v[242:243], v[88:89], v[242:243]
	v_add_f64 v[6:7], v[10:11], v[6:7]
	v_mul_f64 v[10:11], v[138:139], s[20:21]
	v_fma_f64 v[252:253], v[167:168], s[28:29], v[8:9]
	v_add_f64 v[238:239], v[244:245], v[238:239]
	v_fma_f64 v[240:241], v[209:210], s[24:25], v[240:241]
	v_mov_b32_e32 v119, v51
	v_mov_b32_e32 v118, v50
	;; [unrolled: 1-line block ×3, first 2 shown]
	v_add_f64 v[6:7], v[230:231], v[6:7]
	v_mov_b32_e32 v116, v48
	v_mov_b32_e32 v51, v15
	v_mul_f64 v[244:245], v[195:196], s[20:21]
	v_mov_b32_e32 v50, v14
	v_mov_b32_e32 v49, v13
	;; [unrolled: 1-line block ×3, first 2 shown]
	v_fma_f64 v[12:13], v[181:182], s[28:29], -v[246:247]
	v_add_f64 v[14:15], v[248:249], v[242:243]
	v_mul_f64 v[230:231], v[32:33], s[58:59]
	v_fma_f64 v[242:243], v[163:164], s[16:17], v[10:11]
	v_add_f64 v[238:239], v[252:253], v[238:239]
	v_fma_f64 v[2:3], v[207:208], s[22:23], v[2:3]
	v_add_f64 v[6:7], v[240:241], v[6:7]
	v_mul_f64 v[248:249], v[197:198], s[58:59]
	v_fma_f64 v[252:253], v[193:194], s[16:17], -v[244:245]
	v_add_f64 v[12:13], v[12:13], v[14:15]
	v_mul_f64 v[14:15], v[24:25], s[54:55]
	v_fma_f64 v[240:241], v[161:162], s[18:19], v[230:231]
	v_add_f64 v[238:239], v[242:243], v[238:239]
	v_mov_b32_e32 v123, v75
	v_mov_b32_e32 v122, v74
	;; [unrolled: 1-line block ×8, first 2 shown]
	v_fma_f64 v[4:5], v[203:204], s[8:9], v[4:5]
	v_mov_b32_e32 v60, v76
	v_add_f64 v[2:3], v[2:3], v[6:7]
	v_mov_b32_e32 v61, v77
	v_mov_b32_e32 v62, v78
	;; [unrolled: 1-line block ×12, first 2 shown]
	v_mul_f64 v[242:243], v[211:212], s[54:55]
	v_mov_b32_e32 v54, v18
	v_mov_b32_e32 v53, v17
	;; [unrolled: 1-line block ×3, first 2 shown]
	v_fma_f64 v[16:17], v[209:210], s[18:19], -v[248:249]
	v_add_f64 v[12:13], v[252:253], v[12:13]
	v_mul_f64 v[6:7], v[36:37], s[44:45]
	v_fma_f64 v[18:19], v[159:160], s[34:35], v[14:15]
	v_add_f64 v[238:239], v[240:241], v[238:239]
	v_mov_b32_e32 v31, v25
	v_mov_b32_e32 v30, v24
	;; [unrolled: 1-line block ×5, first 2 shown]
	v_add_f64 v[2:3], v[4:5], v[2:3]
	v_mul_f64 v[4:5], v[38:39], s[40:41]
	v_mov_b32_e32 v136, v38
	v_mov_b32_e32 v36, v80
	;; [unrolled: 1-line block ×14, first 2 shown]
	v_fma_f64 v[240:241], v[199:200], s[18:19], v[250:251]
	v_mul_f64 v[250:251], v[205:206], s[44:45]
	v_fma_f64 v[252:253], v[207:208], s[34:35], -v[242:243]
	v_add_f64 v[12:13], v[16:17], v[12:13]
	v_fma_f64 v[16:17], v[173:174], s[36:37], v[6:7]
	v_add_f64 v[18:19], v[18:19], v[238:239]
	v_mov_b32_e32 v58, v22
	v_mov_b32_e32 v57, v21
	;; [unrolled: 1-line block ×3, first 2 shown]
	v_fma_f64 v[20:21], v[169:170], s[24:25], -v[226:227]
	v_fma_f64 v[22:23], v[203:204], s[36:37], -v[250:251]
	v_add_f64 v[12:13], v[252:253], v[12:13]
	v_add_f64 v[226:227], v[240:241], v[2:3]
	;; [unrolled: 1-line block ×3, first 2 shown]
	v_fma_f64 v[2:3], v[165:166], s[8:9], -v[234:235]
	v_fma_f64 v[8:9], v[167:168], s[28:29], -v[8:9]
	v_mul_f64 v[215:216], v[215:216], s[38:39]
	v_add_f64 v[18:19], v[90:91], v[20:21]
	v_fma_f64 v[10:11], v[163:164], s[16:17], -v[10:11]
	v_add_f64 v[22:23], v[22:23], v[12:13]
	v_fma_f64 v[12:13], v[185:186], s[24:25], v[232:233]
	v_mul_f64 v[213:214], v[213:214], s[46:47]
	v_add_f64 v[94:95], v[90:91], v[94:95]
	v_add_f64 v[92:93], v[88:89], v[92:93]
	v_fma_f64 v[232:233], v[169:170], s[22:23], v[215:216]
	v_add_f64 v[2:3], v[2:3], v[18:19]
	v_fma_f64 v[18:19], v[161:162], s[18:19], -v[230:231]
	v_fma_f64 v[230:231], v[183:184], s[8:9], v[236:237]
	v_add_f64 v[12:13], v[88:89], v[12:13]
	v_mul_f64 v[179:180], v[179:180], s[50:51]
	v_add_f64 v[94:95], v[94:95], v[98:99]
	v_add_f64 v[92:93], v[92:93], v[96:97]
	;; [unrolled: 1-line block ×4, first 2 shown]
	v_fma_f64 v[8:9], v[181:182], s[28:29], v[246:247]
	v_fma_f64 v[14:15], v[159:160], s[34:35], -v[14:15]
	v_add_f64 v[12:13], v[230:231], v[12:13]
	v_fma_f64 v[230:231], v[165:166], s[24:25], v[213:214]
	v_fma_f64 v[96:97], v[167:168], s[36:37], v[179:180]
	v_add_f64 v[94:95], v[94:95], v[102:103]
	v_add_f64 v[92:93], v[92:93], v[100:101]
	;; [unrolled: 1-line block ×3, first 2 shown]
	v_fma_f64 v[6:7], v[173:174], s[36:37], -v[6:7]
	v_fma_f64 v[10:11], v[193:194], s[16:17], v[244:245]
	v_add_f64 v[8:9], v[8:9], v[12:13]
	v_mul_f64 v[12:13], v[138:139], s[42:43]
	v_add_f64 v[98:99], v[230:231], v[232:233]
	v_add_f64 v[94:95], v[94:95], v[106:107]
	;; [unrolled: 1-line block ×5, first 2 shown]
	v_fma_f64 v[0:1], v[153:154], s[22:23], v[4:5]
	v_fma_f64 v[4:5], v[153:154], s[22:23], -v[4:5]
	v_fma_f64 v[100:101], v[163:164], s[8:9], v[12:13]
	v_add_f64 v[96:97], v[96:97], v[98:99]
	v_add_f64 v[94:95], v[94:95], v[110:111]
	v_fma_f64 v[18:19], v[209:210], s[18:19], v[248:249]
	v_add_f64 v[2:3], v[14:15], v[2:3]
	v_add_f64 v[8:9], v[10:11], v[8:9]
	v_fma_f64 v[14:15], v[207:208], s[34:35], v[242:243]
	v_mul_f64 v[10:11], v[32:33], s[10:11]
	v_mul_f64 v[110:111], v[34:35], s[46:47]
	v_add_f64 v[96:97], v[100:101], v[96:97]
	v_add_f64 v[100:101], v[92:93], v[108:109]
	v_fma_f64 v[108:109], v[169:170], s[22:23], -v[215:216]
	v_add_f64 v[2:3], v[6:7], v[2:3]
	v_add_f64 v[8:9], v[18:19], v[8:9]
	v_mul_f64 v[34:35], v[191:192], s[50:51]
	v_mul_f64 v[106:107], v[195:196], s[42:43]
	;; [unrolled: 1-line block ×3, first 2 shown]
	v_fma_f64 v[98:99], v[161:162], s[34:35], v[10:11]
	v_mul_f64 v[104:105], v[197:198], s[10:11]
	v_add_f64 v[90:91], v[90:91], v[108:109]
	v_add_f64 v[92:93], v[4:5], v[2:3]
	;; [unrolled: 1-line block ×5, first 2 shown]
	v_mul_f64 v[14:15], v[24:25], s[26:27]
	v_mul_f64 v[24:25], v[171:172], s[38:39]
	v_fma_f64 v[112:113], v[165:166], s[24:25], -v[213:214]
	v_fma_f64 v[108:109], v[183:184], s[24:25], v[110:111]
	v_fma_f64 v[30:31], v[181:182], s[36:37], -v[34:35]
	v_add_f64 v[2:3], v[2:3], v[28:29]
	v_add_f64 v[4:5], v[4:5], v[26:27]
	v_fma_f64 v[12:13], v[163:164], s[8:9], -v[12:13]
	v_fma_f64 v[102:103], v[159:160], s[28:29], v[18:19]
	v_fma_f64 v[32:33], v[185:186], s[22:23], v[24:25]
	v_fma_f64 v[24:25], v[185:186], s[22:23], -v[24:25]
	v_add_f64 v[96:97], v[98:99], v[96:97]
	v_mul_f64 v[26:27], v[211:212], s[30:31]
	v_add_f64 v[2:3], v[2:3], v[42:43]
	v_add_f64 v[4:5], v[4:5], v[40:41]
	v_fma_f64 v[40:41], v[183:184], s[24:25], -v[110:111]
	v_fma_f64 v[42:43], v[167:168], s[36:37], -v[179:180]
	v_add_f64 v[32:33], v[88:89], v[32:33]
	v_add_f64 v[24:25], v[88:89], v[24:25]
	;; [unrolled: 1-line block ×3, first 2 shown]
	v_fma_f64 v[90:91], v[181:182], s[36:37], v[34:35]
	v_add_f64 v[2:3], v[2:3], v[189:190]
	v_add_f64 v[4:5], v[4:5], v[187:188]
	v_fma_f64 v[34:35], v[193:194], s[8:9], v[106:107]
	v_fma_f64 v[10:11], v[161:162], s[34:35], -v[10:11]
	v_add_f64 v[28:29], v[108:109], v[32:33]
	v_add_f64 v[24:25], v[40:41], v[24:25]
	;; [unrolled: 1-line block ×3, first 2 shown]
	v_fma_f64 v[40:41], v[193:194], s[8:9], -v[106:107]
	v_add_f64 v[2:3], v[2:3], v[177:178]
	v_add_f64 v[4:5], v[4:5], v[175:176]
	v_fma_f64 v[6:7], v[203:204], s[36:37], v[250:251]
	v_add_f64 v[96:97], v[102:103], v[96:97]
	v_add_f64 v[28:29], v[90:91], v[28:29]
	;; [unrolled: 1-line block ×4, first 2 shown]
	v_fma_f64 v[30:31], v[209:210], s[34:35], v[104:105]
	v_add_f64 v[2:3], v[2:3], v[58:59]
	v_add_f64 v[4:5], v[4:5], v[56:57]
	v_mul_f64 v[102:103], v[205:206], s[26:27]
	v_fma_f64 v[32:33], v[209:210], s[34:35], -v[104:105]
	v_add_f64 v[28:29], v[34:35], v[28:29]
	v_add_f64 v[24:25], v[40:41], v[24:25]
	v_fma_f64 v[18:19], v[159:160], s[28:29], -v[18:19]
	v_add_f64 v[10:11], v[10:11], v[12:13]
	v_add_f64 v[2:3], v[2:3], v[54:55]
	;; [unrolled: 1-line block ×3, first 2 shown]
	v_fma_f64 v[12:13], v[207:208], s[28:29], v[26:27]
	v_add_f64 v[94:95], v[6:7], v[8:9]
	v_add_f64 v[28:29], v[30:31], v[28:29]
	v_mul_f64 v[6:7], v[136:137], s[20:21]
	v_fma_f64 v[8:9], v[173:174], s[18:19], v[14:15]
	v_mul_f64 v[100:101], v[201:202], s[20:21]
	v_add_f64 v[2:3], v[2:3], v[50:51]
	v_add_f64 v[4:5], v[4:5], v[48:49]
	v_fma_f64 v[26:27], v[207:208], s[28:29], -v[26:27]
	v_add_f64 v[24:25], v[32:33], v[24:25]
	v_fma_f64 v[14:15], v[173:174], s[18:19], -v[14:15]
	v_add_f64 v[10:11], v[18:19], v[10:11]
	v_fma_f64 v[18:19], v[203:204], s[18:19], v[102:103]
	v_add_f64 v[12:13], v[12:13], v[28:29]
	v_add_f64 v[2:3], v[2:3], v[46:47]
	;; [unrolled: 1-line block ×3, first 2 shown]
	v_mul_f64 v[238:239], v[201:202], s[40:41]
	v_add_f64 v[24:25], v[26:27], v[24:25]
	v_fma_f64 v[26:27], v[153:154], s[16:17], -v[6:7]
	v_add_f64 v[10:11], v[14:15], v[10:11]
	v_fma_f64 v[14:15], v[199:200], s[16:17], v[100:101]
	v_add_f64 v[12:13], v[18:19], v[12:13]
	v_add_f64 v[2:3], v[2:3], v[86:87]
	;; [unrolled: 1-line block ×3, first 2 shown]
	v_fma_f64 v[98:99], v[199:200], s[22:23], v[238:239]
	v_fma_f64 v[18:19], v[153:154], s[16:17], v[6:7]
	v_add_f64 v[32:33], v[8:9], v[96:97]
	v_add_f64 v[4:5], v[26:27], v[10:11]
	v_fma_f64 v[28:29], v[203:204], s[18:19], -v[102:103]
	v_fma_f64 v[20:21], v[199:200], s[22:23], -v[238:239]
	v_add_f64 v[8:9], v[2:3], v[157:158]
	v_add_f64 v[6:7], v[30:31], v[155:156]
	;; [unrolled: 1-line block ×5, first 2 shown]
	v_lshlrev_b32_e32 v0, 4, v254
	ds_write_b128 v0, v[6:9]
	ds_write_b128 v0, v[2:5] offset:16
	ds_write_b128 v0, v[90:93] offset:32
	;; [unrolled: 1-line block ×5, first 2 shown]
	buffer_load_dword v1, off, s[60:63], 0 offset:84 ; 4-byte Folded Reload
	buffer_load_dword v2, off, s[60:63], 0 offset:88 ; 4-byte Folded Reload
	;; [unrolled: 1-line block ×4, first 2 shown]
	v_fma_f64 v[34:35], v[199:200], s[16:17], -v[100:101]
	v_add_f64 v[24:25], v[28:29], v[24:25]
	v_mov_b32_e32 v52, v64
	v_mov_b32_e32 v56, v68
	;; [unrolled: 1-line block ×14, first 2 shown]
	v_add_f64 v[10:11], v[20:21], v[22:23]
	v_mov_b32_e32 v69, v81
	v_mov_b32_e32 v70, v82
	;; [unrolled: 1-line block ×8, first 2 shown]
	v_add_f64 v[16:17], v[18:19], v[32:33]
	v_add_f64 v[14:15], v[34:35], v[24:25]
	v_mov_b32_e32 v82, v38
	v_mov_b32_e32 v81, v37
	;; [unrolled: 1-line block ×26, first 2 shown]
	s_waitcnt vmcnt(0)
	ds_write_b128 v0, v[1:4] offset:96
	buffer_load_dword v1, off, s[60:63], 0 offset:68 ; 4-byte Folded Reload
	buffer_load_dword v2, off, s[60:63], 0 offset:72 ; 4-byte Folded Reload
	buffer_load_dword v3, off, s[60:63], 0 offset:76 ; 4-byte Folded Reload
	buffer_load_dword v4, off, s[60:63], 0 offset:80 ; 4-byte Folded Reload
	s_waitcnt vmcnt(0)
	ds_write_b128 v0, v[1:4] offset:112
	buffer_load_dword v1, off, s[60:63], 0 offset:36 ; 4-byte Folded Reload
	buffer_load_dword v2, off, s[60:63], 0 offset:40 ; 4-byte Folded Reload
	buffer_load_dword v3, off, s[60:63], 0 offset:44 ; 4-byte Folded Reload
	buffer_load_dword v4, off, s[60:63], 0 offset:48 ; 4-byte Folded Reload
	;; [unrolled: 6-line block ×5, first 2 shown]
	s_waitcnt vmcnt(0)
	ds_write_b128 v0, v[1:4] offset:176
	ds_write_b128 v0, v[140:143] offset:192
	;; [unrolled: 1-line block ×6, first 2 shown]
.LBB0_13:
	s_or_b64 exec, exec, s[2:3]
	s_waitcnt lgkmcnt(0)
	s_barrier
	ds_read_b128 v[0:3], v255 offset:1904
	ds_read_b128 v[4:7], v255 offset:3808
	;; [unrolled: 1-line block ×3, first 2 shown]
	ds_read_b128 v[12:15], v255
	ds_read_b128 v[16:19], v255 offset:7616
	ds_read_b128 v[20:23], v255 offset:9520
	;; [unrolled: 1-line block ×3, first 2 shown]
	s_mov_b32 s8, 0x37e14327
	s_waitcnt lgkmcnt(6)
	v_mul_f64 v[28:29], v[46:47], v[2:3]
	v_mul_f64 v[30:31], v[46:47], v[0:1]
	s_waitcnt lgkmcnt(5)
	v_mul_f64 v[32:33], v[38:39], v[6:7]
	v_mul_f64 v[34:35], v[38:39], v[4:5]
	;; [unrolled: 3-line block ×3, first 2 shown]
	v_mul_f64 v[46:47], v[50:51], v[18:19]
	v_mul_f64 v[38:39], v[50:51], v[16:17]
	v_fma_f64 v[0:1], v[44:45], v[0:1], v[28:29]
	v_fma_f64 v[2:3], v[44:45], v[2:3], -v[30:31]
	s_waitcnt lgkmcnt(0)
	v_mul_f64 v[28:29], v[58:59], v[26:27]
	v_mul_f64 v[30:31], v[58:59], v[24:25]
	v_fma_f64 v[4:5], v[36:37], v[4:5], v[32:33]
	v_fma_f64 v[6:7], v[36:37], v[6:7], -v[34:35]
	v_mul_f64 v[32:33], v[54:55], v[10:11]
	v_mul_f64 v[34:35], v[54:55], v[8:9]
	v_fma_f64 v[20:21], v[60:61], v[20:21], v[40:41]
	v_fma_f64 v[22:23], v[60:61], v[22:23], -v[42:43]
	v_fma_f64 v[24:25], v[56:57], v[24:25], v[28:29]
	v_fma_f64 v[26:27], v[56:57], v[26:27], -v[30:31]
	;; [unrolled: 2-line block ×4, first 2 shown]
	s_mov_b32 s2, 0x36b3c0b5
	s_mov_b32 s16, 0xe976ee23
	v_add_f64 v[28:29], v[0:1], v[24:25]
	v_add_f64 v[30:31], v[2:3], v[26:27]
	v_add_f64 v[0:1], v[0:1], -v[24:25]
	v_add_f64 v[2:3], v[2:3], -v[26:27]
	v_add_f64 v[24:25], v[4:5], v[20:21]
	v_add_f64 v[26:27], v[6:7], v[22:23]
	v_add_f64 v[4:5], v[4:5], -v[20:21]
	v_add_f64 v[6:7], v[6:7], -v[22:23]
	;; [unrolled: 4-line block ×4, first 2 shown]
	v_add_f64 v[28:29], v[28:29], -v[20:21]
	v_add_f64 v[30:31], v[30:31], -v[22:23]
	;; [unrolled: 1-line block ×4, first 2 shown]
	v_add_f64 v[36:37], v[8:9], v[4:5]
	v_add_f64 v[38:39], v[10:11], v[6:7]
	v_add_f64 v[40:41], v[8:9], -v[4:5]
	v_add_f64 v[42:43], v[10:11], -v[6:7]
	v_add_f64 v[16:17], v[20:21], v[16:17]
	v_add_f64 v[18:19], v[22:23], v[18:19]
	v_add_f64 v[4:5], v[4:5], -v[0:1]
	v_add_f64 v[6:7], v[6:7], -v[2:3]
	s_mov_b32 s9, 0x3fe948f6
	s_mov_b32 s3, 0x3fac98ee
	;; [unrolled: 1-line block ×4, first 2 shown]
	v_add_f64 v[8:9], v[0:1], -v[8:9]
	v_add_f64 v[10:11], v[2:3], -v[10:11]
	v_add_f64 v[20:21], v[36:37], v[0:1]
	v_add_f64 v[22:23], v[38:39], v[2:3]
	;; [unrolled: 1-line block ×4, first 2 shown]
	v_mul_f64 v[12:13], v[28:29], s[8:9]
	v_mul_f64 v[14:15], v[30:31], s[8:9]
	;; [unrolled: 1-line block ×6, first 2 shown]
	s_mov_b32 s11, 0xbfebfeb5
	v_mul_f64 v[40:41], v[4:5], s[10:11]
	v_mul_f64 v[42:43], v[6:7], s[10:11]
	s_mov_b32 s18, 0xaaaaaaaa
	s_mov_b32 s20, 0x5476071b
	;; [unrolled: 1-line block ×8, first 2 shown]
	v_fma_f64 v[16:17], v[16:17], s[18:19], v[0:1]
	v_fma_f64 v[18:19], v[18:19], s[18:19], v[2:3]
	;; [unrolled: 1-line block ×4, first 2 shown]
	v_fma_f64 v[28:29], v[32:33], s[20:21], -v[28:29]
	v_fma_f64 v[30:31], v[34:35], s[20:21], -v[30:31]
	v_fma_f64 v[12:13], v[32:33], s[22:23], -v[12:13]
	v_fma_f64 v[14:15], v[34:35], s[22:23], -v[14:15]
	v_fma_f64 v[32:33], v[8:9], s[24:25], v[36:37]
	v_fma_f64 v[34:35], v[10:11], s[24:25], v[38:39]
	s_mov_b32 s29, 0x3fd5d0dc
	s_mov_b32 s28, s24
	v_fma_f64 v[8:9], v[8:9], s[28:29], -v[40:41]
	v_fma_f64 v[10:11], v[10:11], s[28:29], -v[42:43]
	v_fma_f64 v[4:5], v[4:5], s[10:11], -v[36:37]
	v_fma_f64 v[6:7], v[6:7], s[10:11], -v[38:39]
	s_mov_b32 s26, 0x37c3f68c
	s_mov_b32 s27, 0xbfdc38aa
	v_add_f64 v[24:25], v[24:25], v[16:17]
	v_add_f64 v[26:27], v[26:27], v[18:19]
	v_fma_f64 v[34:35], v[22:23], s[26:27], v[34:35]
	v_fma_f64 v[32:33], v[20:21], s[26:27], v[32:33]
	v_add_f64 v[36:37], v[12:13], v[16:17]
	v_add_f64 v[38:39], v[14:15], v[18:19]
	v_fma_f64 v[40:41], v[22:23], s[26:27], v[10:11]
	v_fma_f64 v[42:43], v[20:21], s[26:27], v[8:9]
	;; [unrolled: 4-line block ×3, first 2 shown]
	v_add_f64 v[4:5], v[34:35], v[24:25]
	v_add_f64 v[6:7], v[26:27], -v[32:33]
	v_add_f64 v[8:9], v[40:41], v[36:37]
	v_add_f64 v[10:11], v[38:39], -v[42:43]
	v_add_f64 v[20:21], v[36:37], -v[40:41]
	v_add_f64 v[22:23], v[42:43], v[38:39]
	v_add_f64 v[12:13], v[28:29], -v[16:17]
	v_add_f64 v[14:15], v[18:19], v[30:31]
	v_add_f64 v[16:17], v[16:17], v[28:29]
	v_add_f64 v[18:19], v[30:31], -v[18:19]
	v_add_f64 v[24:25], v[24:25], -v[34:35]
	v_add_f64 v[26:27], v[32:33], v[26:27]
	s_barrier
	ds_write_b128 v217, v[0:3]
	ds_write_b128 v217, v[4:7] offset:272
	ds_write_b128 v217, v[8:11] offset:544
	;; [unrolled: 1-line block ×6, first 2 shown]
	s_waitcnt lgkmcnt(0)
	s_barrier
	ds_read_b128 v[0:3], v255 offset:1904
	ds_read_b128 v[4:7], v255 offset:3808
	;; [unrolled: 1-line block ×3, first 2 shown]
	ds_read_b128 v[12:15], v255
	ds_read_b128 v[16:19], v255 offset:7616
	ds_read_b128 v[20:23], v255 offset:9520
	;; [unrolled: 1-line block ×3, first 2 shown]
	s_waitcnt lgkmcnt(6)
	v_mul_f64 v[28:29], v[78:79], v[2:3]
	v_mul_f64 v[30:31], v[78:79], v[0:1]
	s_waitcnt lgkmcnt(5)
	v_mul_f64 v[32:33], v[74:75], v[6:7]
	v_mul_f64 v[34:35], v[74:75], v[4:5]
	;; [unrolled: 3-line block ×3, first 2 shown]
	v_mul_f64 v[40:41], v[66:67], v[18:19]
	v_mul_f64 v[42:43], v[66:67], v[16:17]
	v_fma_f64 v[0:1], v[76:77], v[0:1], v[28:29]
	v_fma_f64 v[2:3], v[76:77], v[2:3], -v[30:31]
	s_waitcnt lgkmcnt(0)
	v_mul_f64 v[28:29], v[82:83], v[26:27]
	v_mul_f64 v[30:31], v[82:83], v[24:25]
	v_fma_f64 v[4:5], v[72:73], v[4:5], v[32:33]
	v_fma_f64 v[6:7], v[72:73], v[6:7], -v[34:35]
	v_mul_f64 v[32:33], v[70:71], v[10:11]
	v_mul_f64 v[34:35], v[70:71], v[8:9]
	v_fma_f64 v[20:21], v[84:85], v[20:21], v[36:37]
	v_fma_f64 v[22:23], v[84:85], v[22:23], -v[38:39]
	v_fma_f64 v[24:25], v[80:81], v[24:25], v[28:29]
	v_fma_f64 v[26:27], v[80:81], v[26:27], -v[30:31]
	;; [unrolled: 2-line block ×4, first 2 shown]
	v_add_f64 v[28:29], v[0:1], v[24:25]
	v_add_f64 v[30:31], v[2:3], v[26:27]
	v_add_f64 v[0:1], v[0:1], -v[24:25]
	v_add_f64 v[2:3], v[2:3], -v[26:27]
	v_add_f64 v[24:25], v[4:5], v[20:21]
	v_add_f64 v[26:27], v[6:7], v[22:23]
	v_add_f64 v[4:5], v[4:5], -v[20:21]
	v_add_f64 v[6:7], v[6:7], -v[22:23]
	v_add_f64 v[20:21], v[8:9], v[16:17]
	v_add_f64 v[22:23], v[10:11], v[18:19]
	v_add_f64 v[8:9], v[16:17], -v[8:9]
	v_add_f64 v[10:11], v[18:19], -v[10:11]
	v_add_f64 v[16:17], v[24:25], v[28:29]
	v_add_f64 v[18:19], v[26:27], v[30:31]
	v_add_f64 v[32:33], v[24:25], -v[28:29]
	v_add_f64 v[34:35], v[26:27], -v[30:31]
	v_add_f64 v[28:29], v[28:29], -v[20:21]
	v_add_f64 v[30:31], v[30:31], -v[22:23]
	;; [unrolled: 1-line block ×4, first 2 shown]
	v_add_f64 v[36:37], v[8:9], v[4:5]
	v_add_f64 v[38:39], v[10:11], v[6:7]
	v_add_f64 v[40:41], v[8:9], -v[4:5]
	v_add_f64 v[42:43], v[10:11], -v[6:7]
	v_add_f64 v[16:17], v[20:21], v[16:17]
	v_add_f64 v[18:19], v[22:23], v[18:19]
	v_add_f64 v[4:5], v[4:5], -v[0:1]
	v_add_f64 v[6:7], v[6:7], -v[2:3]
	;; [unrolled: 1-line block ×4, first 2 shown]
	v_add_f64 v[20:21], v[36:37], v[0:1]
	v_add_f64 v[22:23], v[38:39], v[2:3]
	;; [unrolled: 1-line block ×4, first 2 shown]
	v_mul_f64 v[12:13], v[28:29], s[8:9]
	v_mul_f64 v[14:15], v[30:31], s[8:9]
	;; [unrolled: 1-line block ×8, first 2 shown]
	v_fma_f64 v[16:17], v[16:17], s[18:19], v[0:1]
	v_fma_f64 v[18:19], v[18:19], s[18:19], v[2:3]
	;; [unrolled: 1-line block ×4, first 2 shown]
	v_fma_f64 v[28:29], v[32:33], s[20:21], -v[28:29]
	v_fma_f64 v[30:31], v[34:35], s[20:21], -v[30:31]
	;; [unrolled: 1-line block ×4, first 2 shown]
	v_fma_f64 v[32:33], v[8:9], s[24:25], v[36:37]
	v_fma_f64 v[34:35], v[10:11], s[24:25], v[38:39]
	v_fma_f64 v[8:9], v[8:9], s[28:29], -v[40:41]
	v_fma_f64 v[10:11], v[10:11], s[28:29], -v[42:43]
	;; [unrolled: 1-line block ×4, first 2 shown]
	v_add_f64 v[24:25], v[24:25], v[16:17]
	v_add_f64 v[26:27], v[26:27], v[18:19]
	v_fma_f64 v[32:33], v[20:21], s[26:27], v[32:33]
	v_fma_f64 v[34:35], v[22:23], s[26:27], v[34:35]
	v_add_f64 v[36:37], v[12:13], v[16:17]
	v_add_f64 v[38:39], v[14:15], v[18:19]
	v_fma_f64 v[40:41], v[22:23], s[26:27], v[10:11]
	v_fma_f64 v[42:43], v[20:21], s[26:27], v[8:9]
	;; [unrolled: 4-line block ×3, first 2 shown]
	v_add_f64 v[4:5], v[34:35], v[24:25]
	v_add_f64 v[6:7], v[26:27], -v[32:33]
	v_add_f64 v[8:9], v[40:41], v[36:37]
	v_add_f64 v[10:11], v[38:39], -v[42:43]
	v_add_f64 v[20:21], v[36:37], -v[40:41]
	v_add_f64 v[22:23], v[42:43], v[38:39]
	v_add_f64 v[12:13], v[28:29], -v[16:17]
	v_add_f64 v[14:15], v[18:19], v[30:31]
	v_add_f64 v[16:17], v[16:17], v[28:29]
	v_add_f64 v[18:19], v[30:31], -v[18:19]
	v_add_f64 v[24:25], v[24:25], -v[34:35]
	v_add_f64 v[26:27], v[32:33], v[26:27]
	ds_write_b128 v255, v[0:3]
	ds_write_b128 v255, v[4:7] offset:1904
	ds_write_b128 v255, v[8:11] offset:3808
	;; [unrolled: 1-line block ×6, first 2 shown]
	s_waitcnt lgkmcnt(0)
	s_barrier
	s_and_b64 exec, exec, s[0:1]
	s_cbranch_execz .LBB0_15
; %bb.14:
	global_load_dwordx4 v[0:3], v255, s[12:13]
	ds_read_b128 v[4:7], v255
	buffer_load_dword v24, off, s[60:63], 0 ; 4-byte Folded Reload
	v_mad_u64_u32 v[12:13], s[0:1], s6, v152, 0
	ds_read_b128 v[8:11], v255 offset:784
	ds_read_b128 v[16:19], v255 offset:12544
	s_mul_i32 s3, s5, 0x310
	s_mul_i32 s2, s4, 0x310
	s_waitcnt vmcnt(1) lgkmcnt(2)
	v_mul_f64 v[20:21], v[6:7], v[2:3]
	v_mul_f64 v[2:3], v[4:5], v[2:3]
	s_waitcnt vmcnt(0)
	v_mad_u64_u32 v[14:15], s[0:1], s4, v24, 0
	v_mad_u64_u32 v[22:23], s[0:1], s7, v152, v[13:14]
	v_fma_f64 v[4:5], v[4:5], v[0:1], v[20:21]
	v_fma_f64 v[2:3], v[0:1], v[6:7], -v[2:3]
	s_waitcnt lgkmcnt(0)
	v_mad_u64_u32 v[23:24], s[0:1], s5, v24, v[15:16]
	s_mov_b32 s0, 0xca869b81
	s_mov_b32 s1, 0x3f53ab2d
	v_mov_b32_e32 v13, v22
	v_lshlrev_b64 v[6:7], 4, v[12:13]
	v_mul_f64 v[0:1], v[4:5], s[0:1]
	v_mul_f64 v[2:3], v[2:3], s[0:1]
	v_mov_b32_e32 v15, v23
	v_mov_b32_e32 v20, s15
	v_lshlrev_b64 v[12:13], 4, v[14:15]
	v_add_co_u32_e32 v4, vcc, s14, v6
	v_addc_co_u32_e32 v5, vcc, v20, v7, vcc
	v_add_co_u32_e32 v4, vcc, v4, v12
	v_addc_co_u32_e32 v5, vcc, v5, v13, vcc
	global_store_dwordx4 v[4:5], v[0:3], off
	global_load_dwordx4 v[0:3], v255, s[12:13] offset:784
	s_mul_hi_u32 s5, s4, 0x310
	s_add_i32 s3, s5, s3
	v_add_co_u32_e32 v12, vcc, s2, v4
	s_movk_i32 s4, 0x1000
	s_waitcnt vmcnt(0)
	v_mul_f64 v[6:7], v[10:11], v[2:3]
	v_mul_f64 v[2:3], v[8:9], v[2:3]
	v_fma_f64 v[6:7], v[8:9], v[0:1], v[6:7]
	v_fma_f64 v[2:3], v[0:1], v[10:11], -v[2:3]
	v_mul_f64 v[0:1], v[6:7], s[0:1]
	v_mul_f64 v[2:3], v[2:3], s[0:1]
	v_mov_b32_e32 v6, s3
	v_addc_co_u32_e32 v13, vcc, v5, v6, vcc
	global_store_dwordx4 v[12:13], v[0:3], off
	global_load_dwordx4 v[0:3], v255, s[12:13] offset:1568
	ds_read_b128 v[4:7], v255 offset:1568
	ds_read_b128 v[8:11], v255 offset:2352
	s_waitcnt vmcnt(0) lgkmcnt(1)
	v_mul_f64 v[14:15], v[6:7], v[2:3]
	v_mul_f64 v[2:3], v[4:5], v[2:3]
	v_fma_f64 v[4:5], v[4:5], v[0:1], v[14:15]
	v_fma_f64 v[2:3], v[0:1], v[6:7], -v[2:3]
	v_mul_f64 v[0:1], v[4:5], s[0:1]
	v_mul_f64 v[2:3], v[2:3], s[0:1]
	v_mov_b32_e32 v5, s3
	v_add_co_u32_e32 v4, vcc, s2, v12
	v_addc_co_u32_e32 v5, vcc, v13, v5, vcc
	v_add_co_u32_e32 v12, vcc, s2, v4
	global_store_dwordx4 v[4:5], v[0:3], off
	global_load_dwordx4 v[0:3], v255, s[12:13] offset:2352
	s_waitcnt vmcnt(0) lgkmcnt(0)
	v_mul_f64 v[6:7], v[10:11], v[2:3]
	v_mul_f64 v[2:3], v[8:9], v[2:3]
	v_fma_f64 v[6:7], v[8:9], v[0:1], v[6:7]
	v_fma_f64 v[2:3], v[0:1], v[10:11], -v[2:3]
	v_mul_f64 v[0:1], v[6:7], s[0:1]
	v_mul_f64 v[2:3], v[2:3], s[0:1]
	v_mov_b32_e32 v6, s3
	v_addc_co_u32_e32 v13, vcc, v5, v6, vcc
	global_store_dwordx4 v[12:13], v[0:3], off
	global_load_dwordx4 v[0:3], v255, s[12:13] offset:3136
	ds_read_b128 v[4:7], v255 offset:3136
	ds_read_b128 v[8:11], v255 offset:3920
	s_waitcnt vmcnt(0) lgkmcnt(1)
	v_mul_f64 v[14:15], v[6:7], v[2:3]
	v_mul_f64 v[2:3], v[4:5], v[2:3]
	v_fma_f64 v[4:5], v[4:5], v[0:1], v[14:15]
	v_fma_f64 v[2:3], v[0:1], v[6:7], -v[2:3]
	v_mul_f64 v[0:1], v[4:5], s[0:1]
	v_mul_f64 v[2:3], v[2:3], s[0:1]
	v_mov_b32_e32 v5, s3
	v_add_co_u32_e32 v4, vcc, s2, v12
	v_addc_co_u32_e32 v5, vcc, v13, v5, vcc
	v_mov_b32_e32 v12, s13
	v_add_co_u32_e32 v22, vcc, s12, v255
	global_store_dwordx4 v[4:5], v[0:3], off
	global_load_dwordx4 v[0:3], v255, s[12:13] offset:3920
	v_addc_co_u32_e32 v23, vcc, 0, v12, vcc
	v_add_co_u32_e32 v12, vcc, s4, v22
	v_addc_co_u32_e32 v13, vcc, 0, v23, vcc
	v_add_co_u32_e32 v14, vcc, s2, v4
	s_movk_i32 s4, 0x2000
	s_waitcnt vmcnt(0) lgkmcnt(0)
	v_mul_f64 v[6:7], v[10:11], v[2:3]
	v_mul_f64 v[2:3], v[8:9], v[2:3]
	v_fma_f64 v[6:7], v[8:9], v[0:1], v[6:7]
	v_fma_f64 v[2:3], v[0:1], v[10:11], -v[2:3]
	v_mov_b32_e32 v8, s3
	v_addc_co_u32_e32 v15, vcc, v5, v8, vcc
	v_mul_f64 v[0:1], v[6:7], s[0:1]
	v_mul_f64 v[2:3], v[2:3], s[0:1]
	global_store_dwordx4 v[14:15], v[0:3], off
	global_load_dwordx4 v[0:3], v[12:13], off offset:608
	ds_read_b128 v[4:7], v255 offset:4704
	ds_read_b128 v[8:11], v255 offset:5488
	s_waitcnt vmcnt(0) lgkmcnt(1)
	v_mul_f64 v[20:21], v[6:7], v[2:3]
	v_mul_f64 v[2:3], v[4:5], v[2:3]
	v_fma_f64 v[4:5], v[4:5], v[0:1], v[20:21]
	v_fma_f64 v[2:3], v[0:1], v[6:7], -v[2:3]
	v_mul_f64 v[0:1], v[4:5], s[0:1]
	v_mul_f64 v[2:3], v[2:3], s[0:1]
	v_mov_b32_e32 v5, s3
	v_add_co_u32_e32 v4, vcc, s2, v14
	v_addc_co_u32_e32 v5, vcc, v15, v5, vcc
	v_add_co_u32_e32 v14, vcc, s2, v4
	global_store_dwordx4 v[4:5], v[0:3], off
	global_load_dwordx4 v[0:3], v[12:13], off offset:1392
	s_waitcnt vmcnt(0) lgkmcnt(0)
	v_mul_f64 v[6:7], v[10:11], v[2:3]
	v_mul_f64 v[2:3], v[8:9], v[2:3]
	v_fma_f64 v[6:7], v[8:9], v[0:1], v[6:7]
	v_fma_f64 v[2:3], v[0:1], v[10:11], -v[2:3]
	v_mul_f64 v[0:1], v[6:7], s[0:1]
	v_mul_f64 v[2:3], v[2:3], s[0:1]
	v_mov_b32_e32 v6, s3
	v_addc_co_u32_e32 v15, vcc, v5, v6, vcc
	global_store_dwordx4 v[14:15], v[0:3], off
	global_load_dwordx4 v[0:3], v[12:13], off offset:2176
	ds_read_b128 v[4:7], v255 offset:6272
	ds_read_b128 v[8:11], v255 offset:7056
	s_waitcnt vmcnt(0) lgkmcnt(1)
	v_mul_f64 v[20:21], v[6:7], v[2:3]
	v_mul_f64 v[2:3], v[4:5], v[2:3]
	v_fma_f64 v[4:5], v[4:5], v[0:1], v[20:21]
	v_fma_f64 v[2:3], v[0:1], v[6:7], -v[2:3]
	v_mul_f64 v[0:1], v[4:5], s[0:1]
	v_mul_f64 v[2:3], v[2:3], s[0:1]
	v_mov_b32_e32 v5, s3
	v_add_co_u32_e32 v4, vcc, s2, v14
	v_addc_co_u32_e32 v5, vcc, v15, v5, vcc
	v_add_co_u32_e32 v14, vcc, s2, v4
	global_store_dwordx4 v[4:5], v[0:3], off
	global_load_dwordx4 v[0:3], v[12:13], off offset:2960
	s_waitcnt vmcnt(0) lgkmcnt(0)
	v_mul_f64 v[6:7], v[10:11], v[2:3]
	v_mul_f64 v[2:3], v[8:9], v[2:3]
	v_fma_f64 v[6:7], v[8:9], v[0:1], v[6:7]
	v_fma_f64 v[2:3], v[0:1], v[10:11], -v[2:3]
	v_mul_f64 v[0:1], v[6:7], s[0:1]
	v_mul_f64 v[2:3], v[2:3], s[0:1]
	v_mov_b32_e32 v6, s3
	v_addc_co_u32_e32 v15, vcc, v5, v6, vcc
	global_store_dwordx4 v[14:15], v[0:3], off
	global_load_dwordx4 v[0:3], v[12:13], off offset:3744
	ds_read_b128 v[4:7], v255 offset:7840
	ds_read_b128 v[8:11], v255 offset:8624
	s_waitcnt vmcnt(0) lgkmcnt(1)
	v_mul_f64 v[12:13], v[6:7], v[2:3]
	v_mul_f64 v[2:3], v[4:5], v[2:3]
	v_fma_f64 v[4:5], v[4:5], v[0:1], v[12:13]
	v_fma_f64 v[2:3], v[0:1], v[6:7], -v[2:3]
	v_add_co_u32_e32 v12, vcc, s4, v22
	v_addc_co_u32_e32 v13, vcc, 0, v23, vcc
	v_mov_b32_e32 v6, s3
	s_movk_i32 s4, 0x3000
	v_mul_f64 v[0:1], v[4:5], s[0:1]
	v_mul_f64 v[2:3], v[2:3], s[0:1]
	v_add_co_u32_e32 v4, vcc, s2, v14
	v_addc_co_u32_e32 v5, vcc, v15, v6, vcc
	v_add_co_u32_e32 v14, vcc, s2, v4
	global_store_dwordx4 v[4:5], v[0:3], off
	global_load_dwordx4 v[0:3], v[12:13], off offset:432
	s_waitcnt vmcnt(0) lgkmcnt(0)
	v_mul_f64 v[6:7], v[10:11], v[2:3]
	v_mul_f64 v[2:3], v[8:9], v[2:3]
	v_fma_f64 v[6:7], v[8:9], v[0:1], v[6:7]
	v_fma_f64 v[2:3], v[0:1], v[10:11], -v[2:3]
	v_mul_f64 v[0:1], v[6:7], s[0:1]
	v_mul_f64 v[2:3], v[2:3], s[0:1]
	v_mov_b32_e32 v6, s3
	v_addc_co_u32_e32 v15, vcc, v5, v6, vcc
	global_store_dwordx4 v[14:15], v[0:3], off
	global_load_dwordx4 v[0:3], v[12:13], off offset:1216
	ds_read_b128 v[4:7], v255 offset:9408
	ds_read_b128 v[8:11], v255 offset:10192
	s_waitcnt vmcnt(0) lgkmcnt(1)
	v_mul_f64 v[20:21], v[6:7], v[2:3]
	v_mul_f64 v[2:3], v[4:5], v[2:3]
	v_fma_f64 v[4:5], v[4:5], v[0:1], v[20:21]
	v_fma_f64 v[2:3], v[0:1], v[6:7], -v[2:3]
	v_mul_f64 v[0:1], v[4:5], s[0:1]
	v_mul_f64 v[2:3], v[2:3], s[0:1]
	v_mov_b32_e32 v5, s3
	v_add_co_u32_e32 v4, vcc, s2, v14
	v_addc_co_u32_e32 v5, vcc, v15, v5, vcc
	v_add_co_u32_e32 v14, vcc, s2, v4
	global_store_dwordx4 v[4:5], v[0:3], off
	global_load_dwordx4 v[0:3], v[12:13], off offset:2000
	s_waitcnt vmcnt(0) lgkmcnt(0)
	v_mul_f64 v[6:7], v[10:11], v[2:3]
	v_mul_f64 v[2:3], v[8:9], v[2:3]
	v_fma_f64 v[6:7], v[8:9], v[0:1], v[6:7]
	v_fma_f64 v[2:3], v[0:1], v[10:11], -v[2:3]
	v_mul_f64 v[0:1], v[6:7], s[0:1]
	v_mul_f64 v[2:3], v[2:3], s[0:1]
	v_mov_b32_e32 v6, s3
	v_addc_co_u32_e32 v15, vcc, v5, v6, vcc
	global_store_dwordx4 v[14:15], v[0:3], off
	global_load_dwordx4 v[0:3], v[12:13], off offset:2784
	ds_read_b128 v[4:7], v255 offset:10976
	ds_read_b128 v[8:11], v255 offset:11760
	s_waitcnt vmcnt(0) lgkmcnt(1)
	v_mul_f64 v[20:21], v[6:7], v[2:3]
	v_mul_f64 v[2:3], v[4:5], v[2:3]
	v_fma_f64 v[4:5], v[4:5], v[0:1], v[20:21]
	v_fma_f64 v[2:3], v[0:1], v[6:7], -v[2:3]
	v_mul_f64 v[0:1], v[4:5], s[0:1]
	v_mul_f64 v[2:3], v[2:3], s[0:1]
	v_mov_b32_e32 v5, s3
	v_add_co_u32_e32 v4, vcc, s2, v14
	v_addc_co_u32_e32 v5, vcc, v15, v5, vcc
	global_store_dwordx4 v[4:5], v[0:3], off
	global_load_dwordx4 v[0:3], v[12:13], off offset:3568
	s_waitcnt vmcnt(0) lgkmcnt(0)
	v_mul_f64 v[6:7], v[10:11], v[2:3]
	v_mul_f64 v[2:3], v[8:9], v[2:3]
	v_fma_f64 v[6:7], v[8:9], v[0:1], v[6:7]
	v_fma_f64 v[2:3], v[0:1], v[10:11], -v[2:3]
	v_mov_b32_e32 v8, s3
	v_mul_f64 v[0:1], v[6:7], s[0:1]
	v_mul_f64 v[2:3], v[2:3], s[0:1]
	v_add_co_u32_e32 v6, vcc, s4, v22
	v_addc_co_u32_e32 v7, vcc, 0, v23, vcc
	v_add_co_u32_e32 v4, vcc, s2, v4
	v_addc_co_u32_e32 v5, vcc, v5, v8, vcc
	global_store_dwordx4 v[4:5], v[0:3], off
	global_load_dwordx4 v[0:3], v[6:7], off offset:256
	v_add_co_u32_e32 v4, vcc, s2, v4
	s_waitcnt vmcnt(0)
	v_mul_f64 v[6:7], v[18:19], v[2:3]
	v_mul_f64 v[2:3], v[16:17], v[2:3]
	v_fma_f64 v[6:7], v[16:17], v[0:1], v[6:7]
	v_fma_f64 v[2:3], v[0:1], v[18:19], -v[2:3]
	v_mul_f64 v[0:1], v[6:7], s[0:1]
	v_mul_f64 v[2:3], v[2:3], s[0:1]
	v_mov_b32_e32 v6, s3
	v_addc_co_u32_e32 v5, vcc, v5, v6, vcc
	global_store_dwordx4 v[4:5], v[0:3], off
.LBB0_15:
	s_endpgm
	.section	.rodata,"a",@progbits
	.p2align	6, 0x0
	.amdhsa_kernel bluestein_single_fwd_len833_dim1_dp_op_CI_CI
		.amdhsa_group_segment_fixed_size 13328
		.amdhsa_private_segment_fixed_size 448
		.amdhsa_kernarg_size 104
		.amdhsa_user_sgpr_count 6
		.amdhsa_user_sgpr_private_segment_buffer 1
		.amdhsa_user_sgpr_dispatch_ptr 0
		.amdhsa_user_sgpr_queue_ptr 0
		.amdhsa_user_sgpr_kernarg_segment_ptr 1
		.amdhsa_user_sgpr_dispatch_id 0
		.amdhsa_user_sgpr_flat_scratch_init 0
		.amdhsa_user_sgpr_private_segment_size 0
		.amdhsa_uses_dynamic_stack 0
		.amdhsa_system_sgpr_private_segment_wavefront_offset 1
		.amdhsa_system_sgpr_workgroup_id_x 1
		.amdhsa_system_sgpr_workgroup_id_y 0
		.amdhsa_system_sgpr_workgroup_id_z 0
		.amdhsa_system_sgpr_workgroup_info 0
		.amdhsa_system_vgpr_workitem_id 0
		.amdhsa_next_free_vgpr 256
		.amdhsa_next_free_sgpr 64
		.amdhsa_reserve_vcc 1
		.amdhsa_reserve_flat_scratch 0
		.amdhsa_float_round_mode_32 0
		.amdhsa_float_round_mode_16_64 0
		.amdhsa_float_denorm_mode_32 3
		.amdhsa_float_denorm_mode_16_64 3
		.amdhsa_dx10_clamp 1
		.amdhsa_ieee_mode 1
		.amdhsa_fp16_overflow 0
		.amdhsa_exception_fp_ieee_invalid_op 0
		.amdhsa_exception_fp_denorm_src 0
		.amdhsa_exception_fp_ieee_div_zero 0
		.amdhsa_exception_fp_ieee_overflow 0
		.amdhsa_exception_fp_ieee_underflow 0
		.amdhsa_exception_fp_ieee_inexact 0
		.amdhsa_exception_int_div_zero 0
	.end_amdhsa_kernel
	.text
.Lfunc_end0:
	.size	bluestein_single_fwd_len833_dim1_dp_op_CI_CI, .Lfunc_end0-bluestein_single_fwd_len833_dim1_dp_op_CI_CI
                                        ; -- End function
	.section	.AMDGPU.csdata,"",@progbits
; Kernel info:
; codeLenInByte = 25280
; NumSgprs: 68
; NumVgprs: 256
; ScratchSize: 448
; MemoryBound: 0
; FloatMode: 240
; IeeeMode: 1
; LDSByteSize: 13328 bytes/workgroup (compile time only)
; SGPRBlocks: 8
; VGPRBlocks: 63
; NumSGPRsForWavesPerEU: 68
; NumVGPRsForWavesPerEU: 256
; Occupancy: 1
; WaveLimiterHint : 1
; COMPUTE_PGM_RSRC2:SCRATCH_EN: 1
; COMPUTE_PGM_RSRC2:USER_SGPR: 6
; COMPUTE_PGM_RSRC2:TRAP_HANDLER: 0
; COMPUTE_PGM_RSRC2:TGID_X_EN: 1
; COMPUTE_PGM_RSRC2:TGID_Y_EN: 0
; COMPUTE_PGM_RSRC2:TGID_Z_EN: 0
; COMPUTE_PGM_RSRC2:TIDIG_COMP_CNT: 0
	.type	__hip_cuid_5d6342dbc6de351f,@object ; @__hip_cuid_5d6342dbc6de351f
	.section	.bss,"aw",@nobits
	.globl	__hip_cuid_5d6342dbc6de351f
__hip_cuid_5d6342dbc6de351f:
	.byte	0                               ; 0x0
	.size	__hip_cuid_5d6342dbc6de351f, 1

	.ident	"AMD clang version 19.0.0git (https://github.com/RadeonOpenCompute/llvm-project roc-6.4.0 25133 c7fe45cf4b819c5991fe208aaa96edf142730f1d)"
	.section	".note.GNU-stack","",@progbits
	.addrsig
	.addrsig_sym __hip_cuid_5d6342dbc6de351f
	.amdgpu_metadata
---
amdhsa.kernels:
  - .args:
      - .actual_access:  read_only
        .address_space:  global
        .offset:         0
        .size:           8
        .value_kind:     global_buffer
      - .actual_access:  read_only
        .address_space:  global
        .offset:         8
        .size:           8
        .value_kind:     global_buffer
      - .actual_access:  read_only
        .address_space:  global
        .offset:         16
        .size:           8
        .value_kind:     global_buffer
      - .actual_access:  read_only
        .address_space:  global
        .offset:         24
        .size:           8
        .value_kind:     global_buffer
      - .actual_access:  read_only
        .address_space:  global
        .offset:         32
        .size:           8
        .value_kind:     global_buffer
      - .offset:         40
        .size:           8
        .value_kind:     by_value
      - .address_space:  global
        .offset:         48
        .size:           8
        .value_kind:     global_buffer
      - .address_space:  global
        .offset:         56
        .size:           8
        .value_kind:     global_buffer
      - .address_space:  global
        .offset:         64
        .size:           8
        .value_kind:     global_buffer
      - .address_space:  global
        .offset:         72
        .size:           8
        .value_kind:     global_buffer
      - .offset:         80
        .size:           4
        .value_kind:     by_value
      - .address_space:  global
        .offset:         88
        .size:           8
        .value_kind:     global_buffer
      - .address_space:  global
        .offset:         96
        .size:           8
        .value_kind:     global_buffer
    .group_segment_fixed_size: 13328
    .kernarg_segment_align: 8
    .kernarg_segment_size: 104
    .language:       OpenCL C
    .language_version:
      - 2
      - 0
    .max_flat_workgroup_size: 119
    .name:           bluestein_single_fwd_len833_dim1_dp_op_CI_CI
    .private_segment_fixed_size: 448
    .sgpr_count:     68
    .sgpr_spill_count: 0
    .symbol:         bluestein_single_fwd_len833_dim1_dp_op_CI_CI.kd
    .uniform_work_group_size: 1
    .uses_dynamic_stack: false
    .vgpr_count:     256
    .vgpr_spill_count: 123
    .wavefront_size: 64
amdhsa.target:   amdgcn-amd-amdhsa--gfx906
amdhsa.version:
  - 1
  - 2
...

	.end_amdgpu_metadata
